;; amdgpu-corpus repo=ROCm/rocFFT kind=compiled arch=gfx906 opt=O3
	.text
	.amdgcn_target "amdgcn-amd-amdhsa--gfx906"
	.amdhsa_code_object_version 6
	.protected	fft_rtc_back_len1440_factors_10_16_3_3_wgs_90_tpt_90_halfLds_dp_ip_CI_sbrr_dirReg ; -- Begin function fft_rtc_back_len1440_factors_10_16_3_3_wgs_90_tpt_90_halfLds_dp_ip_CI_sbrr_dirReg
	.globl	fft_rtc_back_len1440_factors_10_16_3_3_wgs_90_tpt_90_halfLds_dp_ip_CI_sbrr_dirReg
	.p2align	8
	.type	fft_rtc_back_len1440_factors_10_16_3_3_wgs_90_tpt_90_halfLds_dp_ip_CI_sbrr_dirReg,@function
fft_rtc_back_len1440_factors_10_16_3_3_wgs_90_tpt_90_halfLds_dp_ip_CI_sbrr_dirReg: ; @fft_rtc_back_len1440_factors_10_16_3_3_wgs_90_tpt_90_halfLds_dp_ip_CI_sbrr_dirReg
; %bb.0:
	s_load_dwordx2 s[2:3], s[4:5], 0x18
	s_load_dwordx4 s[8:11], s[4:5], 0x0
	s_load_dwordx2 s[14:15], s[4:5], 0x50
	v_mul_u32_u24_e32 v1, 0x2d9, v0
	v_add_u32_sdwa v5, s6, v1 dst_sel:DWORD dst_unused:UNUSED_PAD src0_sel:DWORD src1_sel:WORD_1
	s_waitcnt lgkmcnt(0)
	s_load_dwordx2 s[12:13], s[2:3], 0x0
	v_cmp_lt_u64_e64 s[0:1], s[10:11], 2
	v_mov_b32_e32 v3, 0
	v_mov_b32_e32 v1, 0
	;; [unrolled: 1-line block ×3, first 2 shown]
	s_and_b64 vcc, exec, s[0:1]
	v_mov_b32_e32 v2, 0
	s_cbranch_vccnz .LBB0_8
; %bb.1:
	s_load_dwordx2 s[0:1], s[4:5], 0x10
	s_add_u32 s6, s2, 8
	s_addc_u32 s7, s3, 0
	v_mov_b32_e32 v1, 0
	v_mov_b32_e32 v2, 0
	s_waitcnt lgkmcnt(0)
	s_add_u32 s16, s0, 8
	s_addc_u32 s17, s1, 0
	s_mov_b64 s[18:19], 1
.LBB0_2:                                ; =>This Inner Loop Header: Depth=1
	s_load_dwordx2 s[20:21], s[16:17], 0x0
                                        ; implicit-def: $vgpr7_vgpr8
	s_waitcnt lgkmcnt(0)
	v_or_b32_e32 v4, s21, v6
	v_cmp_ne_u64_e32 vcc, 0, v[3:4]
	s_and_saveexec_b64 s[0:1], vcc
	s_xor_b64 s[22:23], exec, s[0:1]
	s_cbranch_execz .LBB0_4
; %bb.3:                                ;   in Loop: Header=BB0_2 Depth=1
	v_cvt_f32_u32_e32 v4, s20
	v_cvt_f32_u32_e32 v7, s21
	s_sub_u32 s0, 0, s20
	s_subb_u32 s1, 0, s21
	v_mac_f32_e32 v4, 0x4f800000, v7
	v_rcp_f32_e32 v4, v4
	v_mul_f32_e32 v4, 0x5f7ffffc, v4
	v_mul_f32_e32 v7, 0x2f800000, v4
	v_trunc_f32_e32 v7, v7
	v_mac_f32_e32 v4, 0xcf800000, v7
	v_cvt_u32_f32_e32 v7, v7
	v_cvt_u32_f32_e32 v4, v4
	v_mul_lo_u32 v8, s0, v7
	v_mul_hi_u32 v9, s0, v4
	v_mul_lo_u32 v11, s1, v4
	v_mul_lo_u32 v10, s0, v4
	v_add_u32_e32 v8, v9, v8
	v_add_u32_e32 v8, v8, v11
	v_mul_hi_u32 v9, v4, v10
	v_mul_lo_u32 v11, v4, v8
	v_mul_hi_u32 v13, v4, v8
	v_mul_hi_u32 v12, v7, v10
	v_mul_lo_u32 v10, v7, v10
	v_mul_hi_u32 v14, v7, v8
	v_add_co_u32_e32 v9, vcc, v9, v11
	v_addc_co_u32_e32 v11, vcc, 0, v13, vcc
	v_mul_lo_u32 v8, v7, v8
	v_add_co_u32_e32 v9, vcc, v9, v10
	v_addc_co_u32_e32 v9, vcc, v11, v12, vcc
	v_addc_co_u32_e32 v10, vcc, 0, v14, vcc
	v_add_co_u32_e32 v8, vcc, v9, v8
	v_addc_co_u32_e32 v9, vcc, 0, v10, vcc
	v_add_co_u32_e32 v4, vcc, v4, v8
	v_addc_co_u32_e32 v7, vcc, v7, v9, vcc
	v_mul_lo_u32 v8, s0, v7
	v_mul_hi_u32 v9, s0, v4
	v_mul_lo_u32 v10, s1, v4
	v_mul_lo_u32 v11, s0, v4
	v_add_u32_e32 v8, v9, v8
	v_add_u32_e32 v8, v8, v10
	v_mul_lo_u32 v12, v4, v8
	v_mul_hi_u32 v13, v4, v11
	v_mul_hi_u32 v14, v4, v8
	;; [unrolled: 1-line block ×3, first 2 shown]
	v_mul_lo_u32 v11, v7, v11
	v_mul_hi_u32 v9, v7, v8
	v_add_co_u32_e32 v12, vcc, v13, v12
	v_addc_co_u32_e32 v13, vcc, 0, v14, vcc
	v_mul_lo_u32 v8, v7, v8
	v_add_co_u32_e32 v11, vcc, v12, v11
	v_addc_co_u32_e32 v10, vcc, v13, v10, vcc
	v_addc_co_u32_e32 v9, vcc, 0, v9, vcc
	v_add_co_u32_e32 v8, vcc, v10, v8
	v_addc_co_u32_e32 v9, vcc, 0, v9, vcc
	v_add_co_u32_e32 v4, vcc, v4, v8
	v_addc_co_u32_e32 v9, vcc, v7, v9, vcc
	v_mad_u64_u32 v[7:8], s[0:1], v5, v9, 0
	v_mul_hi_u32 v10, v5, v4
	v_add_co_u32_e32 v11, vcc, v10, v7
	v_addc_co_u32_e32 v12, vcc, 0, v8, vcc
	v_mad_u64_u32 v[7:8], s[0:1], v6, v4, 0
	v_mad_u64_u32 v[9:10], s[0:1], v6, v9, 0
	v_add_co_u32_e32 v4, vcc, v11, v7
	v_addc_co_u32_e32 v4, vcc, v12, v8, vcc
	v_addc_co_u32_e32 v7, vcc, 0, v10, vcc
	v_add_co_u32_e32 v4, vcc, v4, v9
	v_addc_co_u32_e32 v9, vcc, 0, v7, vcc
	v_mul_lo_u32 v10, s21, v4
	v_mul_lo_u32 v11, s20, v9
	v_mad_u64_u32 v[7:8], s[0:1], s20, v4, 0
	v_add3_u32 v8, v8, v11, v10
	v_sub_u32_e32 v10, v6, v8
	v_mov_b32_e32 v11, s21
	v_sub_co_u32_e32 v7, vcc, v5, v7
	v_subb_co_u32_e64 v10, s[0:1], v10, v11, vcc
	v_subrev_co_u32_e64 v11, s[0:1], s20, v7
	v_subbrev_co_u32_e64 v10, s[0:1], 0, v10, s[0:1]
	v_cmp_le_u32_e64 s[0:1], s21, v10
	v_cndmask_b32_e64 v12, 0, -1, s[0:1]
	v_cmp_le_u32_e64 s[0:1], s20, v11
	v_cndmask_b32_e64 v11, 0, -1, s[0:1]
	v_cmp_eq_u32_e64 s[0:1], s21, v10
	v_cndmask_b32_e64 v10, v12, v11, s[0:1]
	v_add_co_u32_e64 v11, s[0:1], 2, v4
	v_addc_co_u32_e64 v12, s[0:1], 0, v9, s[0:1]
	v_add_co_u32_e64 v13, s[0:1], 1, v4
	v_addc_co_u32_e64 v14, s[0:1], 0, v9, s[0:1]
	v_subb_co_u32_e32 v8, vcc, v6, v8, vcc
	v_cmp_ne_u32_e64 s[0:1], 0, v10
	v_cmp_le_u32_e32 vcc, s21, v8
	v_cndmask_b32_e64 v10, v14, v12, s[0:1]
	v_cndmask_b32_e64 v12, 0, -1, vcc
	v_cmp_le_u32_e32 vcc, s20, v7
	v_cndmask_b32_e64 v7, 0, -1, vcc
	v_cmp_eq_u32_e32 vcc, s21, v8
	v_cndmask_b32_e32 v7, v12, v7, vcc
	v_cmp_ne_u32_e32 vcc, 0, v7
	v_cndmask_b32_e64 v7, v13, v11, s[0:1]
	v_cndmask_b32_e32 v8, v9, v10, vcc
	v_cndmask_b32_e32 v7, v4, v7, vcc
.LBB0_4:                                ;   in Loop: Header=BB0_2 Depth=1
	s_andn2_saveexec_b64 s[0:1], s[22:23]
	s_cbranch_execz .LBB0_6
; %bb.5:                                ;   in Loop: Header=BB0_2 Depth=1
	v_cvt_f32_u32_e32 v4, s20
	s_sub_i32 s22, 0, s20
	v_rcp_iflag_f32_e32 v4, v4
	v_mul_f32_e32 v4, 0x4f7ffffe, v4
	v_cvt_u32_f32_e32 v4, v4
	v_mul_lo_u32 v7, s22, v4
	v_mul_hi_u32 v7, v4, v7
	v_add_u32_e32 v4, v4, v7
	v_mul_hi_u32 v4, v5, v4
	v_mul_lo_u32 v7, v4, s20
	v_add_u32_e32 v8, 1, v4
	v_sub_u32_e32 v7, v5, v7
	v_subrev_u32_e32 v9, s20, v7
	v_cmp_le_u32_e32 vcc, s20, v7
	v_cndmask_b32_e32 v7, v7, v9, vcc
	v_cndmask_b32_e32 v4, v4, v8, vcc
	v_add_u32_e32 v8, 1, v4
	v_cmp_le_u32_e32 vcc, s20, v7
	v_cndmask_b32_e32 v7, v4, v8, vcc
	v_mov_b32_e32 v8, v3
.LBB0_6:                                ;   in Loop: Header=BB0_2 Depth=1
	s_or_b64 exec, exec, s[0:1]
	v_mul_lo_u32 v4, v8, s20
	v_mul_lo_u32 v11, v7, s21
	v_mad_u64_u32 v[9:10], s[0:1], v7, s20, 0
	s_load_dwordx2 s[0:1], s[6:7], 0x0
	s_add_u32 s18, s18, 1
	v_add3_u32 v4, v10, v11, v4
	v_sub_co_u32_e32 v5, vcc, v5, v9
	v_subb_co_u32_e32 v4, vcc, v6, v4, vcc
	s_waitcnt lgkmcnt(0)
	v_mul_lo_u32 v4, s0, v4
	v_mul_lo_u32 v6, s1, v5
	v_mad_u64_u32 v[1:2], s[0:1], s0, v5, v[1:2]
	s_addc_u32 s19, s19, 0
	s_add_u32 s6, s6, 8
	v_add3_u32 v2, v6, v2, v4
	v_mov_b32_e32 v4, s10
	v_mov_b32_e32 v5, s11
	s_addc_u32 s7, s7, 0
	v_cmp_ge_u64_e32 vcc, s[18:19], v[4:5]
	s_add_u32 s16, s16, 8
	s_addc_u32 s17, s17, 0
	s_cbranch_vccnz .LBB0_9
; %bb.7:                                ;   in Loop: Header=BB0_2 Depth=1
	v_mov_b32_e32 v5, v7
	v_mov_b32_e32 v6, v8
	s_branch .LBB0_2
.LBB0_8:
	v_mov_b32_e32 v8, v6
	v_mov_b32_e32 v7, v5
.LBB0_9:
	s_lshl_b64 s[0:1], s[10:11], 3
	s_add_u32 s0, s2, s0
	s_addc_u32 s1, s3, s1
	s_load_dwordx2 s[2:3], s[0:1], 0x0
	s_load_dwordx2 s[6:7], s[4:5], 0x20
                                        ; implicit-def: $vgpr12_vgpr13
                                        ; implicit-def: $vgpr16_vgpr17
                                        ; implicit-def: $vgpr24_vgpr25
                                        ; implicit-def: $vgpr32_vgpr33
                                        ; implicit-def: $vgpr48_vgpr49
                                        ; implicit-def: $vgpr36_vgpr37
                                        ; implicit-def: $vgpr28_vgpr29
                                        ; implicit-def: $vgpr20_vgpr21
                                        ; implicit-def: $vgpr52_vgpr53
                                        ; implicit-def: $vgpr44_vgpr45
                                        ; implicit-def: $vgpr64_vgpr65
                                        ; implicit-def: $vgpr72_vgpr73
                                        ; implicit-def: $vgpr68_vgpr69
                                        ; implicit-def: $vgpr76_vgpr77
                                        ; implicit-def: $vgpr80_vgpr81
                                        ; implicit-def: $vgpr60_vgpr61
                                        ; implicit-def: $vgpr40_vgpr41
                                        ; implicit-def: $vgpr56_vgpr57
	s_waitcnt lgkmcnt(0)
	v_mad_u64_u32 v[1:2], s[0:1], s2, v7, v[1:2]
	v_mul_lo_u32 v3, s2, v8
	v_mul_lo_u32 v4, s3, v7
	s_mov_b32 s0, 0x2d82d83
	v_mul_hi_u32 v5, v0, s0
	v_cmp_gt_u64_e32 vcc, s[6:7], v[7:8]
	v_add3_u32 v2, v4, v2, v3
	v_lshlrev_b64 v[82:83], 4, v[1:2]
	v_mul_u32_u24_e32 v3, 0x5a, v5
	v_sub_u32_e32 v126, v0, v3
                                        ; implicit-def: $vgpr4_vgpr5
                                        ; implicit-def: $vgpr8_vgpr9
	s_and_saveexec_b64 s[2:3], vcc
	s_cbranch_execz .LBB0_13
; %bb.10:
	v_mad_u64_u32 v[2:3], s[0:1], s12, v126, 0
	v_add_u32_e32 v7, 0x90, v126
	v_mad_u64_u32 v[4:5], s[0:1], s12, v7, 0
	v_mov_b32_e32 v0, v3
	v_mad_u64_u32 v[0:1], s[0:1], s13, v126, v[0:1]
	v_mov_b32_e32 v6, s15
	v_add_u32_e32 v19, 0x1b0, v126
	v_mov_b32_e32 v3, v0
	v_add_co_u32_e64 v0, s[0:1], s14, v82
	v_addc_co_u32_e64 v1, s[0:1], v6, v83, s[0:1]
	v_mad_u64_u32 v[5:6], s[0:1], s13, v7, v[5:6]
	v_lshlrev_b64 v[2:3], 4, v[2:3]
	v_add_u32_e32 v28, 0x2d0, v126
	v_add_co_u32_e64 v10, s[0:1], v0, v2
	v_addc_co_u32_e64 v11, s[0:1], v1, v3, s[0:1]
	v_lshlrev_b64 v[2:3], 4, v[4:5]
	v_add_u32_e32 v4, 0x120, v126
	v_mad_u64_u32 v[12:13], s[0:1], s12, v4, 0
	v_add_co_u32_e64 v14, s[0:1], v0, v2
	v_mov_b32_e32 v2, v13
	v_addc_co_u32_e64 v15, s[0:1], v1, v3, s[0:1]
	v_mad_u64_u32 v[16:17], s[0:1], s13, v4, v[2:3]
	v_mad_u64_u32 v[17:18], s[0:1], s12, v19, 0
	v_mov_b32_e32 v13, v16
	global_load_dwordx4 v[6:9], v[10:11], off
	global_load_dwordx4 v[2:5], v[14:15], off
	v_lshlrev_b64 v[10:11], 4, v[12:13]
	v_mov_b32_e32 v12, v18
	v_mad_u64_u32 v[12:13], s[0:1], s13, v19, v[12:13]
	v_add_co_u32_e64 v19, s[0:1], v0, v10
	v_mov_b32_e32 v18, v12
	v_add_u32_e32 v12, 0x240, v126
	v_addc_co_u32_e64 v20, s[0:1], v1, v11, s[0:1]
	v_mad_u64_u32 v[21:22], s[0:1], s12, v12, 0
	v_lshlrev_b64 v[10:11], 4, v[17:18]
	v_add_u32_e32 v34, 0x3f0, v126
	v_add_co_u32_e64 v23, s[0:1], v0, v10
	v_mov_b32_e32 v10, v22
	v_addc_co_u32_e64 v24, s[0:1], v1, v11, s[0:1]
	v_mad_u64_u32 v[25:26], s[0:1], s13, v12, v[10:11]
	v_mad_u64_u32 v[26:27], s[0:1], s12, v28, 0
	global_load_dwordx4 v[10:13], v[19:20], off
	global_load_dwordx4 v[14:17], v[23:24], off
	v_mov_b32_e32 v22, v25
	v_mov_b32_e32 v20, v27
	v_lshlrev_b64 v[18:19], 4, v[21:22]
	v_mad_u64_u32 v[20:21], s[0:1], s13, v28, v[20:21]
	v_add_co_u32_e64 v18, s[0:1], v0, v18
	v_mov_b32_e32 v27, v20
	v_add_u32_e32 v23, 0x360, v126
	v_addc_co_u32_e64 v19, s[0:1], v1, v19, s[0:1]
	v_lshlrev_b64 v[20:21], 4, v[26:27]
	v_mad_u64_u32 v[26:27], s[0:1], s12, v23, 0
	v_add_co_u32_e64 v20, s[0:1], v0, v20
	v_mov_b32_e32 v22, v27
	v_addc_co_u32_e64 v21, s[0:1], v1, v21, s[0:1]
	v_mad_u64_u32 v[27:28], s[0:1], s13, v23, v[22:23]
	global_load_dwordx4 v[22:25], v[18:19], off
	global_load_dwordx4 v[30:33], v[20:21], off
	v_mad_u64_u32 v[28:29], s[0:1], s12, v34, 0
	v_lshlrev_b64 v[18:19], 4, v[26:27]
                                        ; implicit-def: $vgpr58_vgpr59
                                        ; implicit-def: $vgpr78_vgpr79
                                        ; implicit-def: $vgpr74_vgpr75
                                        ; implicit-def: $vgpr66_vgpr67
                                        ; implicit-def: $vgpr70_vgpr71
                                        ; implicit-def: $vgpr62_vgpr63
                                        ; implicit-def: $vgpr42_vgpr43
                                        ; implicit-def: $vgpr50_vgpr51
	v_mov_b32_e32 v20, v29
	v_mad_u64_u32 v[20:21], s[0:1], s13, v34, v[20:21]
	v_or_b32_e32 v34, 0x480, v126
	v_mad_u64_u32 v[26:27], s[0:1], s12, v34, 0
	v_add_co_u32_e64 v18, s[0:1], v0, v18
	v_mov_b32_e32 v29, v20
	v_addc_co_u32_e64 v19, s[0:1], v1, v19, s[0:1]
	v_lshlrev_b64 v[20:21], 4, v[28:29]
	v_mad_u64_u32 v[27:28], s[0:1], s13, v34, v[27:28]
	v_add_u32_e32 v34, 0x510, v126
	v_mad_u64_u32 v[28:29], s[0:1], s12, v34, 0
	v_add_co_u32_e64 v20, s[0:1], v0, v20
	v_addc_co_u32_e64 v21, s[0:1], v1, v21, s[0:1]
	v_lshlrev_b64 v[26:27], 4, v[26:27]
	global_load_dwordx4 v[54:57], v[18:19], off
	global_load_dwordx4 v[46:49], v[20:21], off
	s_waitcnt vmcnt(2)
	v_mad_u64_u32 v[34:35], s[0:1], s13, v34, v[29:30]
	v_add_co_u32_e64 v26, s[0:1], v0, v26
	v_mov_b32_e32 v29, v34
	v_lshlrev_b64 v[18:19], 4, v[28:29]
	v_addc_co_u32_e64 v27, s[0:1], v1, v27, s[0:1]
	v_add_co_u32_e64 v18, s[0:1], v0, v18
	v_addc_co_u32_e64 v19, s[0:1], v1, v19, s[0:1]
	global_load_dwordx4 v[34:37], v[26:27], off
	global_load_dwordx4 v[38:41], v[18:19], off
	v_cmp_gt_u32_e64 s[0:1], 54, v126
                                        ; implicit-def: $vgpr18_vgpr19
                                        ; implicit-def: $vgpr26_vgpr27
	s_and_saveexec_b64 s[4:5], s[0:1]
	s_cbranch_execz .LBB0_12
; %bb.11:
	v_add_u32_e32 v26, 0x5a, v126
	v_add_u32_e32 v28, 0xea, v126
	v_mad_u64_u32 v[18:19], s[0:1], s12, v26, 0
	v_mad_u64_u32 v[20:21], s[0:1], s12, v28, 0
	v_add_u32_e32 v67, 0x32a, v126
	v_add_u32_e32 v76, 0x44a, v126
	v_mad_u64_u32 v[26:27], s[0:1], s13, v26, v[19:20]
	v_add_u32_e32 v84, 0x56a, v126
	v_mov_b32_e32 v19, v26
	v_mad_u64_u32 v[26:27], s[0:1], s13, v28, v[21:22]
	v_lshlrev_b64 v[18:19], 4, v[18:19]
	v_add_co_u32_e64 v42, s[0:1], v0, v18
	v_mov_b32_e32 v21, v26
	v_addc_co_u32_e64 v43, s[0:1], v1, v19, s[0:1]
	v_lshlrev_b64 v[18:19], 4, v[20:21]
	v_add_u32_e32 v20, 0x17a, v126
	v_mad_u64_u32 v[44:45], s[0:1], s12, v20, 0
	v_add_co_u32_e64 v50, s[0:1], v0, v18
	v_mov_b32_e32 v18, v45
	v_addc_co_u32_e64 v51, s[0:1], v1, v19, s[0:1]
	v_mad_u64_u32 v[52:53], s[0:1], s13, v20, v[18:19]
	v_add_u32_e32 v53, 0x20a, v126
	v_mad_u64_u32 v[58:59], s[0:1], s12, v53, 0
	v_mov_b32_e32 v45, v52
	global_load_dwordx4 v[26:29], v[42:43], off
	global_load_dwordx4 v[18:21], v[50:51], off
	v_lshlrev_b64 v[42:43], 4, v[44:45]
	v_mov_b32_e32 v44, v59
	v_mad_u64_u32 v[44:45], s[0:1], s13, v53, v[44:45]
	v_add_co_u32_e64 v60, s[0:1], v0, v42
	v_mov_b32_e32 v59, v44
	v_add_u32_e32 v44, 0x29a, v126
	v_addc_co_u32_e64 v61, s[0:1], v1, v43, s[0:1]
	v_lshlrev_b64 v[42:43], 4, v[58:59]
	v_mad_u64_u32 v[58:59], s[0:1], s12, v44, 0
	v_add_co_u32_e64 v62, s[0:1], v0, v42
	v_mov_b32_e32 v42, v59
	v_addc_co_u32_e64 v63, s[0:1], v1, v43, s[0:1]
	v_mad_u64_u32 v[64:65], s[0:1], s13, v44, v[42:43]
	v_mad_u64_u32 v[65:66], s[0:1], s12, v67, 0
	global_load_dwordx4 v[50:53], v[60:61], off
	global_load_dwordx4 v[42:45], v[62:63], off
	v_mov_b32_e32 v59, v64
	v_mov_b32_e32 v60, v66
	v_mad_u64_u32 v[60:61], s[0:1], s13, v67, v[60:61]
	v_lshlrev_b64 v[58:59], 4, v[58:59]
	v_add_co_u32_e64 v67, s[0:1], v0, v58
	v_mov_b32_e32 v66, v60
	v_add_u32_e32 v60, 0x3ba, v126
	v_addc_co_u32_e64 v68, s[0:1], v1, v59, s[0:1]
	v_mad_u64_u32 v[69:70], s[0:1], s12, v60, 0
	v_lshlrev_b64 v[58:59], 4, v[65:66]
	v_add_co_u32_e64 v71, s[0:1], v0, v58
	v_mov_b32_e32 v58, v70
	v_addc_co_u32_e64 v72, s[0:1], v1, v59, s[0:1]
	v_mad_u64_u32 v[73:74], s[0:1], s13, v60, v[58:59]
	v_mad_u64_u32 v[74:75], s[0:1], s12, v76, 0
	global_load_dwordx4 v[62:65], v[67:68], off
	global_load_dwordx4 v[58:61], v[71:72], off
	v_mov_b32_e32 v70, v73
	v_mov_b32_e32 v68, v75
	v_lshlrev_b64 v[66:67], 4, v[69:70]
	v_mad_u64_u32 v[68:69], s[0:1], s13, v76, v[68:69]
	v_add_co_u32_e64 v66, s[0:1], v0, v66
	v_add_u32_e32 v72, 0x4da, v126
	v_addc_co_u32_e64 v67, s[0:1], v1, v67, s[0:1]
	v_mov_b32_e32 v75, v68
	v_mad_u64_u32 v[70:71], s[0:1], s12, v72, 0
	v_lshlrev_b64 v[68:69], 4, v[74:75]
	v_add_co_u32_e64 v68, s[0:1], v0, v68
	v_addc_co_u32_e64 v69, s[0:1], v1, v69, s[0:1]
	v_mad_u64_u32 v[71:72], s[0:1], s13, v72, v[71:72]
	v_mad_u64_u32 v[72:73], s[0:1], s12, v84, 0
	global_load_dwordx4 v[78:81], v[66:67], off
	global_load_dwordx4 v[74:77], v[68:69], off
	v_lshlrev_b64 v[66:67], 4, v[70:71]
	v_mov_b32_e32 v68, v73
	v_mad_u64_u32 v[68:69], s[0:1], s13, v84, v[68:69]
	v_add_co_u32_e64 v84, s[0:1], v0, v66
	v_mov_b32_e32 v73, v68
	v_addc_co_u32_e64 v85, s[0:1], v1, v67, s[0:1]
	v_lshlrev_b64 v[66:67], 4, v[72:73]
	v_add_co_u32_e64 v0, s[0:1], v0, v66
	v_addc_co_u32_e64 v1, s[0:1], v1, v67, s[0:1]
	global_load_dwordx4 v[66:69], v[84:85], off
	global_load_dwordx4 v[70:73], v[0:1], off
.LBB0_12:
	s_or_b64 exec, exec, s[4:5]
.LBB0_13:
	s_or_b64 exec, exec, s[2:3]
	s_waitcnt vmcnt(3)
	v_add_f64 v[0:1], v[22:23], v[54:55]
	s_waitcnt vmcnt(1)
	v_add_f64 v[90:91], v[10:11], v[34:35]
	v_add_f64 v[84:85], v[10:11], v[6:7]
	v_add_f64 v[86:87], v[12:13], -v[36:37]
	v_add_f64 v[88:89], v[24:25], -v[56:57]
	;; [unrolled: 1-line block ×4, first 2 shown]
	s_mov_b32 s10, 0x134454ff
	v_fma_f64 v[0:1], v[0:1], -0.5, v[6:7]
	v_fma_f64 v[6:7], v[90:91], -0.5, v[6:7]
	s_mov_b32 s11, 0xbfee6f0e
	s_mov_b32 s5, 0x3fee6f0e
	;; [unrolled: 1-line block ×3, first 2 shown]
	v_add_f64 v[96:97], v[22:23], -v[10:11]
	v_add_f64 v[98:99], v[54:55], -v[34:35]
	v_add_f64 v[92:93], v[92:93], v[94:95]
	v_fma_f64 v[90:91], v[86:87], s[10:11], v[0:1]
	v_fma_f64 v[0:1], v[86:87], s[4:5], v[0:1]
	;; [unrolled: 1-line block ×4, first 2 shown]
	v_add_f64 v[100:101], v[2:3], v[14:15]
	s_mov_b32 s16, 0x4755a5e
	s_mov_b32 s17, 0xbfe2cf23
	;; [unrolled: 1-line block ×4, first 2 shown]
	v_fma_f64 v[90:91], v[88:89], s[16:17], v[90:91]
	v_fma_f64 v[0:1], v[88:89], s[2:3], v[0:1]
	;; [unrolled: 1-line block ×3, first 2 shown]
	v_add_f64 v[94:95], v[96:97], v[98:99]
	v_fma_f64 v[6:7], v[86:87], s[2:3], v[6:7]
	v_add_f64 v[86:87], v[100:101], v[30:31]
	v_add_f64 v[96:97], v[30:31], v[46:47]
	s_mov_b32 s6, 0x372fe950
	s_mov_b32 s7, 0x3fd3c6ef
	v_fma_f64 v[90:91], v[92:93], s[6:7], v[90:91]
	v_fma_f64 v[0:1], v[92:93], s[6:7], v[0:1]
	v_add_f64 v[92:93], v[14:15], -v[30:31]
	s_waitcnt vmcnt(0)
	v_add_f64 v[98:99], v[38:39], -v[46:47]
	v_fma_f64 v[100:101], v[94:95], s[6:7], v[88:89]
	v_fma_f64 v[94:95], v[94:95], s[6:7], v[6:7]
	v_add_f64 v[6:7], v[86:87], v[46:47]
	v_add_f64 v[86:87], v[32:33], v[48:49]
	v_fma_f64 v[88:89], v[96:97], -0.5, v[2:3]
	v_add_f64 v[96:97], v[16:17], v[40:41]
	v_add_f64 v[84:85], v[22:23], v[84:85]
	;; [unrolled: 1-line block ×4, first 2 shown]
	v_add_f64 v[104:105], v[30:31], -v[14:15]
	v_add_f64 v[106:107], v[46:47], -v[38:39]
	v_fma_f64 v[86:87], v[86:87], -0.5, v[4:5]
	v_add_f64 v[30:31], v[30:31], -v[46:47]
	v_fma_f64 v[46:47], v[96:97], -0.5, v[4:5]
	v_add_f64 v[14:15], v[14:15], -v[38:39]
	v_add_f64 v[84:85], v[54:55], v[84:85]
	v_add_f64 v[102:103], v[16:17], -v[40:41]
	v_add_f64 v[96:97], v[16:17], -v[32:33]
	;; [unrolled: 1-line block ×6, first 2 shown]
	v_add_f64 v[104:105], v[104:105], v[106:107]
	v_fma_f64 v[106:107], v[30:31], s[10:11], v[46:47]
	v_fma_f64 v[2:3], v[98:99], -0.5, v[2:3]
	v_fma_f64 v[46:47], v[30:31], s[4:5], v[46:47]
	v_fma_f64 v[98:99], v[14:15], s[4:5], v[86:87]
	v_add_f64 v[96:97], v[96:97], v[108:109]
	v_add_f64 v[108:109], v[110:111], v[112:113]
	v_fma_f64 v[86:87], v[14:15], s[10:11], v[86:87]
	v_fma_f64 v[110:111], v[102:103], s[10:11], v[88:89]
	;; [unrolled: 1-line block ×6, first 2 shown]
	v_add_f64 v[98:99], v[34:35], v[84:85]
	v_fma_f64 v[84:85], v[102:103], s[4:5], v[88:89]
	v_fma_f64 v[2:3], v[114:115], s[10:11], v[2:3]
	v_add_f64 v[116:117], v[6:7], v[38:39]
	v_fma_f64 v[6:7], v[108:109], s[6:7], v[106:107]
	v_fma_f64 v[88:89], v[102:103], s[16:17], v[112:113]
	;; [unrolled: 1-line block ×8, first 2 shown]
	s_mov_b32 s21, 0xbfd3c6ef
	v_fma_f64 v[86:87], v[104:105], s[6:7], v[88:89]
	s_mov_b32 s20, s6
	v_fma_f64 v[14:15], v[92:93], s[6:7], v[38:39]
	v_fma_f64 v[30:31], v[96:97], s[6:7], v[30:31]
	v_mul_f64 v[96:97], v[46:47], s[16:17]
	v_fma_f64 v[88:89], v[104:105], s[6:7], v[2:3]
	v_mul_f64 v[2:3], v[84:85], s[10:11]
	v_mul_f64 v[102:103], v[6:7], s[10:11]
	s_mov_b32 s18, 0x9b97f4a8
	s_mov_b32 s19, 0x3fe9e377
	v_add_f64 v[104:105], v[74:75], v[58:59]
	v_fma_f64 v[38:39], v[92:93], s[6:7], v[106:107]
	v_fma_f64 v[96:97], v[14:15], s[18:19], v[96:97]
	v_add_f64 v[128:129], v[116:117], v[98:99]
	v_fma_f64 v[2:3], v[88:89], s[20:21], v[2:3]
	v_fma_f64 v[102:103], v[86:87], s[6:7], v[102:103]
	v_add_f64 v[142:143], v[98:99], -v[116:117]
	v_add_f64 v[98:99], v[42:43], v[70:71]
	v_add_f64 v[116:117], v[60:61], -v[76:77]
	v_add_f64 v[112:113], v[42:43], -v[58:59]
	v_add_f64 v[130:131], v[96:97], v[90:91]
	v_add_f64 v[132:133], v[90:91], -v[96:97]
	v_add_f64 v[138:139], v[94:95], v[2:3]
	v_add_f64 v[144:145], v[94:95], -v[2:3]
	v_add_f64 v[2:3], v[50:51], -v[62:63]
	;; [unrolled: 1-line block ×4, first 2 shown]
	v_add_f64 v[136:137], v[100:101], v[102:103]
	v_fma_f64 v[90:91], v[104:105], -0.5, v[18:19]
	v_add_f64 v[96:97], v[44:45], -v[72:73]
	v_add_f64 v[100:101], v[76:77], v[60:61]
	v_add_f64 v[102:103], v[62:63], -v[50:51]
	v_add_f64 v[104:105], v[78:79], -v[66:67]
	v_add_f64 v[106:107], v[2:3], v[94:95]
	v_add_f64 v[2:3], v[44:45], v[72:73]
	v_add_f64 v[114:115], v[70:71], -v[74:75]
	v_add_f64 v[120:121], v[42:43], -v[70:71]
	v_fma_f64 v[110:111], v[96:97], s[10:11], v[90:91]
	v_fma_f64 v[118:119], v[100:101], -0.5, v[20:21]
	v_add_f64 v[124:125], v[58:59], -v[74:75]
	v_fma_f64 v[98:99], v[98:99], -0.5, v[18:19]
	v_add_f64 v[108:109], v[102:103], v[104:105]
	v_fma_f64 v[2:3], v[2:3], -0.5, v[20:21]
	v_add_f64 v[148:149], v[114:115], v[112:113]
	v_add_f64 v[112:113], v[72:73], -v[76:77]
	v_fma_f64 v[94:95], v[116:117], s[16:17], v[110:111]
	v_fma_f64 v[104:105], v[120:121], s[4:5], v[118:119]
	v_add_f64 v[110:111], v[44:45], -v[60:61]
	v_add_f64 v[114:115], v[62:63], v[78:79]
	v_add_f64 v[122:123], v[50:51], v[66:67]
	v_add_f64 v[150:151], v[60:61], -v[44:45]
	v_add_f64 v[152:153], v[76:77], -v[72:73]
	v_fma_f64 v[154:155], v[124:125], s[10:11], v[2:3]
	v_fma_f64 v[100:101], v[116:117], s[4:5], v[98:99]
	v_add_f64 v[102:103], v[58:59], -v[42:43]
	v_add_f64 v[146:147], v[74:75], -v[70:71]
	v_fma_f64 v[104:105], v[124:125], s[2:3], v[104:105]
	v_add_f64 v[156:157], v[112:113], v[110:111]
	v_fma_f64 v[110:111], v[114:115], -0.5, v[26:27]
	v_add_f64 v[114:115], v[52:53], -v[68:69]
	v_fma_f64 v[112:113], v[122:123], -0.5, v[26:27]
	v_add_f64 v[122:123], v[64:65], -v[80:81]
	v_add_f64 v[150:151], v[152:153], v[150:151]
	v_fma_f64 v[152:153], v[120:121], s[2:3], v[154:155]
	v_add_f64 v[154:155], v[146:147], v[102:103]
	v_fma_f64 v[100:101], v[96:97], s[16:17], v[100:101]
	v_fma_f64 v[146:147], v[116:117], s[10:11], v[98:99]
	;; [unrolled: 1-line block ×5, first 2 shown]
	v_mul_f64 v[92:93], v[30:31], s[16:17]
	v_fma_f64 v[102:103], v[150:151], s[6:7], v[152:153]
	v_fma_f64 v[90:91], v[96:97], s[4:5], v[90:91]
	;; [unrolled: 1-line block ×8, first 2 shown]
	v_mul_f64 v[158:159], v[98:99], s[16:17]
	v_mul_f64 v[160:161], v[102:103], s[10:11]
	s_mov_b32 s23, 0xbfe9e377
	s_mov_b32 s22, s18
	v_fma_f64 v[92:93], v[38:39], s[22:23], v[92:93]
	v_fma_f64 v[90:91], v[116:117], s[2:3], v[90:91]
	v_fma_f64 v[96:97], v[96:97], s[2:3], v[146:147]
	v_fma_f64 v[94:95], v[124:125], s[16:17], v[94:95]
	v_fma_f64 v[2:3], v[120:121], s[16:17], v[2:3]
	v_fma_f64 v[116:117], v[106:107], s[6:7], v[118:119]
	v_fma_f64 v[120:121], v[108:109], s[6:7], v[152:153]
	v_fma_f64 v[118:119], v[104:105], s[18:19], v[158:159]
	v_fma_f64 v[124:125], v[100:101], s[6:7], v[160:161]
	v_add_f64 v[140:141], v[92:93], v[0:1]
	v_add_f64 v[146:147], v[0:1], -v[92:93]
	v_fma_f64 v[90:91], v[148:149], s[6:7], v[90:91]
	v_fma_f64 v[92:93], v[154:155], s[6:7], v[96:97]
	;; [unrolled: 1-line block ×4, first 2 shown]
	v_add_f64 v[0:1], v[116:117], -v[118:119]
	v_add_f64 v[2:3], v[120:121], -v[124:125]
	v_mul_u32_u24_e32 v127, 10, v126
	v_lshl_add_u32 v127, v127, 3, 0
	v_cmp_gt_u32_e64 s[0:1], 54, v126
	ds_write_b128 v127, v[128:131]
	ds_write_b128 v127, v[136:139] offset:16
	ds_write_b128 v127, v[140:143] offset:32
	;; [unrolled: 1-line block ×4, first 2 shown]
	s_and_saveexec_b64 s[24:25], s[0:1]
	s_cbranch_execz .LBB0_15
; %bb.14:
	v_add_f64 v[26:27], v[26:27], v[50:51]
	v_add_f64 v[18:19], v[18:19], v[42:43]
	v_mul_f64 v[42:43], v[122:123], s[4:5]
	v_mul_f64 v[128:129], v[114:115], s[4:5]
	;; [unrolled: 1-line block ×5, first 2 shown]
	v_add_f64 v[26:27], v[26:27], v[62:63]
	v_add_f64 v[18:19], v[18:19], v[58:59]
	v_mul_f64 v[58:59], v[114:115], s[2:3]
	v_add_f64 v[42:43], v[112:113], -v[42:43]
	v_add_f64 v[110:111], v[128:129], v[110:111]
	v_mul_f64 v[112:113], v[94:95], s[16:17]
	v_add_f64 v[26:27], v[26:27], v[78:79]
	v_add_f64 v[18:19], v[74:75], v[18:19]
	v_mul_f64 v[74:75], v[96:97], s[10:11]
	v_add_f64 v[42:43], v[58:59], v[42:43]
	v_add_f64 v[110:111], v[122:123], v[110:111]
	v_fma_f64 v[58:59], v[90:91], s[22:23], v[112:113]
	v_add_f64 v[112:113], v[116:117], v[118:119]
	v_add_f64 v[26:27], v[66:67], v[26:27]
	;; [unrolled: 1-line block ×3, first 2 shown]
	v_fma_f64 v[70:71], v[92:93], s[20:21], v[74:75]
	v_add_f64 v[42:43], v[108:109], v[42:43]
	v_add_f64 v[114:115], v[106:107], v[110:111]
	;; [unrolled: 1-line block ×4, first 2 shown]
	v_add_f64 v[120:121], v[26:27], -v[18:19]
	v_add_f64 v[108:109], v[42:43], v[70:71]
	v_add_f64 v[118:119], v[114:115], v[58:59]
	v_add_f64 v[116:117], v[114:115], -v[58:59]
	v_add_f64 v[114:115], v[42:43], -v[70:71]
	ds_write_b128 v127, v[0:3] offset:7248
	ds_write_b128 v127, v[110:113] offset:7200
	;; [unrolled: 1-line block ×5, first 2 shown]
.LBB0_15:
	s_or_b64 exec, exec, s[24:25]
	v_add_f64 v[18:19], v[24:25], v[56:57]
	v_add_f64 v[26:27], v[12:13], v[36:37]
	v_add_f64 v[10:11], v[10:11], -v[34:35]
	v_add_f64 v[4:5], v[4:5], v[16:17]
	v_add_f64 v[42:43], v[12:13], v[8:9]
	v_add_f64 v[22:23], v[22:23], -v[54:55]
	v_add_f64 v[34:35], v[12:13], -v[24:25]
	;; [unrolled: 1-line block ×3, first 2 shown]
	v_fma_f64 v[16:17], v[18:19], -0.5, v[8:9]
	v_add_f64 v[18:19], v[36:37], -v[56:57]
	v_fma_f64 v[8:9], v[26:27], -0.5, v[8:9]
	v_add_f64 v[26:27], v[56:57], -v[36:37]
	v_add_f64 v[4:5], v[4:5], v[32:33]
	v_add_f64 v[24:25], v[24:25], v[42:43]
	v_add_f64 v[50:51], v[50:51], -v[66:67]
	v_add_f64 v[66:67], v[62:63], -v[78:79]
	v_fma_f64 v[32:33], v[10:11], s[4:5], v[16:17]
	v_fma_f64 v[16:17], v[10:11], s[10:11], v[16:17]
	v_fma_f64 v[42:43], v[22:23], s[10:11], v[8:9]
	v_add_f64 v[18:19], v[34:35], v[18:19]
	v_add_f64 v[12:13], v[12:13], v[26:27]
	v_fma_f64 v[8:9], v[22:23], s[4:5], v[8:9]
	v_add_f64 v[34:35], v[52:53], v[68:69]
	v_add_f64 v[24:25], v[56:57], v[24:25]
	v_fma_f64 v[26:27], v[22:23], s[2:3], v[32:33]
	;; [unrolled: 3-line block ×3, first 2 shown]
	v_fma_f64 v[22:23], v[10:11], s[2:3], v[42:43]
	v_fma_f64 v[8:9], v[10:11], s[16:17], v[8:9]
	v_fma_f64 v[62:63], v[34:35], -0.5, v[28:29]
	v_add_f64 v[10:11], v[36:37], v[24:25]
	v_fma_f64 v[36:37], v[18:19], s[6:7], v[26:27]
	v_fma_f64 v[58:59], v[32:33], -0.5, v[28:29]
	v_add_f64 v[4:5], v[4:5], v[40:41]
	v_fma_f64 v[16:17], v[18:19], s[6:7], v[16:17]
	v_fma_f64 v[18:19], v[12:13], s[6:7], v[22:23]
	;; [unrolled: 1-line block ×3, first 2 shown]
	v_mul_f64 v[12:13], v[46:47], s[18:19]
	v_mul_f64 v[22:23], v[86:87], s[4:5]
	;; [unrolled: 1-line block ×3, first 2 shown]
	v_fma_f64 v[26:27], v[50:51], s[4:5], v[58:59]
	v_add_f64 v[32:33], v[52:53], -v[64:65]
	v_add_f64 v[34:35], v[68:69], -v[80:81]
	v_fma_f64 v[40:41], v[66:67], s[10:11], v[62:63]
	v_add_f64 v[42:43], v[64:65], -v[52:53]
	v_add_f64 v[46:47], v[80:81], -v[68:69]
	v_fma_f64 v[12:13], v[14:15], s[2:3], v[12:13]
	v_fma_f64 v[6:7], v[6:7], s[6:7], v[22:23]
	v_mul_f64 v[14:15], v[30:31], s[18:19]
	v_fma_f64 v[30:31], v[88:89], s[4:5], -v[24:25]
	v_fma_f64 v[22:23], v[66:67], s[2:3], v[26:27]
	v_add_f64 v[70:71], v[32:33], v[34:35]
	v_fma_f64 v[24:25], v[50:51], s[2:3], v[40:41]
	v_add_f64 v[74:75], v[42:43], v[46:47]
	v_mul_f64 v[26:27], v[104:105], s[2:3]
	v_mul_f64 v[32:33], v[102:103], s[6:7]
	v_fma_f64 v[14:15], v[38:39], s[2:3], -v[14:15]
	v_add_f64 v[109:110], v[4:5], v[10:11]
	v_add_f64 v[111:112], v[36:37], v[12:13]
	v_fma_f64 v[22:23], v[70:71], s[6:7], v[22:23]
	v_add_f64 v[84:85], v[18:19], v[6:7]
	v_fma_f64 v[24:25], v[74:75], s[6:7], v[24:25]
	v_fma_f64 v[26:27], v[98:99], s[18:19], v[26:27]
	;; [unrolled: 1-line block ×3, first 2 shown]
	v_add_f64 v[100:101], v[10:11], -v[4:5]
	v_add_f64 v[115:116], v[18:19], -v[6:7]
	s_movk_i32 s10, 0xffb8
	v_add_f64 v[86:87], v[8:9], v[30:31]
	v_mad_i32_i24 v103, v126, s10, v127
	v_add_f64 v[98:99], v[16:17], v[14:15]
	v_add_f64 v[4:5], v[22:23], -v[26:27]
	v_add_f64 v[6:7], v[24:25], -v[42:43]
	v_add_u32_e32 v104, 0x400, v103
	v_add_u32_e32 v107, 0x800, v103
	;; [unrolled: 1-line block ×7, first 2 shown]
	v_add_f64 v[113:114], v[36:37], -v[12:13]
	v_add_f64 v[117:118], v[8:9], -v[30:31]
	;; [unrolled: 1-line block ×3, first 2 shown]
	s_waitcnt lgkmcnt(0)
	s_barrier
	ds_read2_b64 v[12:15], v103 offset1:90
	ds_read2_b64 v[54:57], v104 offset0:52 offset1:142
	ds_read2_b64 v[46:49], v107 offset0:104 offset1:194
	;; [unrolled: 1-line block ×7, first 2 shown]
	v_add_u32_e32 v102, 0x5a, v126
	s_waitcnt lgkmcnt(0)
	s_barrier
	ds_write_b128 v127, v[109:112]
	ds_write_b128 v127, v[84:87] offset:16
	ds_write_b128 v127, v[98:101] offset:32
	;; [unrolled: 1-line block ×4, first 2 shown]
	s_and_saveexec_b64 s[10:11], s[0:1]
	s_cbranch_execz .LBB0_17
; %bb.16:
	v_add_f64 v[28:29], v[28:29], v[52:53]
	v_mul_f64 v[52:53], v[66:67], s[4:5]
	v_add_f64 v[20:21], v[20:21], v[44:45]
	v_mul_f64 v[44:45], v[50:51], s[4:5]
	v_mul_f64 v[50:51], v[50:51], s[2:3]
	v_mul_f64 v[66:67], v[66:67], s[2:3]
	s_mov_b32 s0, 0x372fe950
	s_mov_b32 s1, 0xbfd3c6ef
	v_add_f64 v[28:29], v[28:29], v[64:65]
	v_add_f64 v[52:53], v[62:63], v[52:53]
	;; [unrolled: 1-line block ×3, first 2 shown]
	v_add_f64 v[44:45], v[58:59], -v[44:45]
	v_mul_f64 v[62:63], v[74:75], s[6:7]
	s_mov_b32 s2, 0x9b97f4a8
	s_mov_b32 s3, 0xbfe9e377
	v_mul_f64 v[60:61], v[70:71], s[6:7]
	v_add_f64 v[28:29], v[28:29], v[80:81]
	v_add_f64 v[50:51], v[52:53], -v[50:51]
	v_add_f64 v[20:21], v[76:77], v[20:21]
	v_mul_f64 v[52:53], v[96:97], s[0:1]
	v_mul_f64 v[58:59], v[94:95], s[2:3]
	v_add_f64 v[44:45], v[44:45], -v[66:67]
	s_mov_b32 s0, 0x134454ff
	s_mov_b32 s1, 0x3fee6f0e
	v_add_f64 v[28:29], v[68:69], v[28:29]
	v_add_f64 v[50:51], v[62:63], v[50:51]
	;; [unrolled: 1-line block ×3, first 2 shown]
	v_fma_f64 v[52:53], v[92:93], s[0:1], v[52:53]
	s_mov_b32 s0, 0x4755a5e
	s_mov_b32 s1, 0x3fe2cf23
	v_fma_f64 v[58:59], v[90:91], s[0:1], v[58:59]
	v_add_f64 v[60:61], v[60:61], v[44:45]
	v_add_f64 v[22:23], v[22:23], v[26:27]
	;; [unrolled: 1-line block ×5, first 2 shown]
	v_add_f64 v[44:45], v[28:29], -v[62:63]
	v_add_f64 v[50:51], v[50:51], -v[52:53]
	v_mul_u32_u24_e32 v28, 10, v102
	v_add_f64 v[42:43], v[60:61], v[58:59]
	v_add_f64 v[52:53], v[60:61], -v[58:59]
	v_lshl_add_u32 v28, v28, 3, 0
	ds_write_b128 v28, v[20:23]
	ds_write_b128 v28, v[24:27] offset:16
	ds_write_b128 v28, v[42:45] offset:32
	;; [unrolled: 1-line block ×4, first 2 shown]
.LBB0_17:
	s_or_b64 exec, exec, s[10:11]
	s_movk_i32 s0, 0xcd
	v_mul_lo_u16_sdwa v20, v126, s0 dst_sel:DWORD dst_unused:UNUSED_PAD src0_sel:BYTE_0 src1_sel:DWORD
	v_lshrrev_b16_e32 v125, 11, v20
	v_mul_lo_u16_e32 v20, 10, v125
	v_sub_u16_e32 v173, v126, v20
	v_mov_b32_e32 v20, 15
	v_mul_u32_u24_sdwa v20, v173, v20 dst_sel:DWORD dst_unused:UNUSED_PAD src0_sel:BYTE_0 src1_sel:DWORD
	v_lshlrev_b32_e32 v20, 4, v20
	s_waitcnt lgkmcnt(0)
	s_barrier
	global_load_dwordx4 v[42:45], v20, s[8:9]
	global_load_dwordx4 v[50:53], v20, s[8:9] offset:16
	global_load_dwordx4 v[62:65], v20, s[8:9] offset:32
	;; [unrolled: 1-line block ×14, first 2 shown]
	ds_read2_b64 v[26:29], v103 offset1:90
	ds_read2_b64 v[127:130], v104 offset0:52 offset1:142
	ds_read2_b64 v[131:134], v107 offset0:104 offset1:194
	;; [unrolled: 1-line block ×7, first 2 shown]
	s_mov_b32 s0, 0x667f3bcd
	s_mov_b32 s1, 0x3fe6a09e
	;; [unrolled: 1-line block ×10, first 2 shown]
	s_waitcnt vmcnt(0) lgkmcnt(0)
	s_barrier
	v_mul_f64 v[20:21], v[28:29], v[44:45]
	v_mul_f64 v[44:45], v[14:15], v[44:45]
	v_mul_f64 v[100:101], v[127:128], v[52:53]
	v_mul_f64 v[52:53], v[54:55], v[52:53]
	v_mul_f64 v[147:148], v[129:130], v[64:65]
	v_mul_f64 v[151:152], v[133:134], v[72:73]
	v_mul_f64 v[72:73], v[48:49], v[72:73]
	v_mul_f64 v[64:65], v[56:57], v[64:65]
	v_mul_f64 v[159:160], v[60:61], v[90:91]
	v_mul_f64 v[90:91], v[10:11], v[90:91]
	v_mul_f64 v[149:150], v[131:132], v[68:69]
	v_mul_f64 v[68:69], v[46:47], v[68:69]
	v_mul_f64 v[167:168], v[145:146], v[115:116]
	v_mul_f64 v[115:116], v[32:33], v[115:116]
	v_mul_f64 v[153:154], v[135:136], v[76:77]
	v_mul_f64 v[76:77], v[38:39], v[76:77]
	v_mul_f64 v[157:158], v[58:59], v[24:25]
	v_mul_f64 v[161:162], v[139:140], v[94:95]
	v_mul_f64 v[94:95], v[34:35], v[94:95]
	v_mul_f64 v[163:164], v[141:142], v[98:99]
	v_mul_f64 v[165:166], v[143:144], v[111:112]
	v_mul_f64 v[111:112], v[30:31], v[111:112]
	v_mul_f64 v[169:170], v[78:79], v[119:120]
	v_mul_f64 v[119:120], v[16:17], v[119:120]
	v_fma_f64 v[14:15], v[14:15], v[42:43], v[20:21]
	v_fma_f64 v[20:21], v[28:29], v[42:43], -v[44:45]
	v_fma_f64 v[42:43], v[54:55], v[50:51], v[100:101]
	v_fma_f64 v[44:45], v[127:128], v[50:51], -v[52:53]
	;; [unrolled: 2-line block ×3, first 2 shown]
	v_fma_f64 v[60:61], v[60:61], v[88:89], -v[90:91]
	v_fma_f64 v[72:73], v[145:146], v[113:114], -v[115:116]
	v_mul_f64 v[155:156], v[137:138], v[86:87]
	v_mul_f64 v[86:87], v[40:41], v[86:87]
	;; [unrolled: 1-line block ×5, first 2 shown]
	v_fma_f64 v[54:55], v[129:130], v[62:63], -v[64:65]
	v_fma_f64 v[46:47], v[46:47], v[66:67], v[149:150]
	v_fma_f64 v[28:29], v[131:132], v[66:67], -v[68:69]
	v_fma_f64 v[38:39], v[38:39], v[74:75], v[153:154]
	;; [unrolled: 2-line block ×3, first 2 shown]
	v_fma_f64 v[34:35], v[34:35], v[92:93], v[161:162]
	v_fma_f64 v[66:67], v[139:140], v[92:93], -v[94:95]
	v_fma_f64 v[68:69], v[36:37], v[96:97], v[163:164]
	v_fma_f64 v[36:37], v[143:144], v[109:110], -v[111:112]
	;; [unrolled: 2-line block ×3, first 2 shown]
	v_add_f64 v[60:61], v[20:21], -v[60:61]
	v_add_f64 v[72:73], v[56:57], -v[72:73]
	v_fma_f64 v[48:49], v[48:49], v[70:71], v[151:152]
	v_fma_f64 v[40:41], v[40:41], v[84:85], v[155:156]
	v_fma_f64 v[64:65], v[137:138], v[84:85], -v[86:87]
	v_fma_f64 v[10:11], v[10:11], v[88:89], v[159:160]
	v_fma_f64 v[70:71], v[141:142], v[96:97], -v[98:99]
	v_fma_f64 v[32:33], v[32:33], v[113:114], v[167:168]
	v_fma_f64 v[18:19], v[18:19], v[121:122], v[171:172]
	v_fma_f64 v[76:77], v[80:81], v[121:122], -v[123:124]
	v_add_f64 v[78:79], v[12:13], -v[52:53]
	v_add_f64 v[36:37], v[28:29], -v[36:37]
	;; [unrolled: 1-line block ×6, first 2 shown]
	v_fma_f64 v[20:21], v[20:21], 2.0, -v[60:61]
	v_fma_f64 v[56:57], v[56:57], 2.0, -v[72:73]
	v_add_f64 v[10:11], v[14:15], -v[10:11]
	v_add_f64 v[32:33], v[48:49], -v[32:33]
	;; [unrolled: 1-line block ×5, first 2 shown]
	v_fma_f64 v[52:53], v[44:45], 2.0, -v[66:67]
	v_fma_f64 v[38:39], v[38:39], 2.0, -v[16:17]
	;; [unrolled: 1-line block ×3, first 2 shown]
	v_add_f64 v[62:63], v[64:65], -v[76:77]
	v_add_f64 v[84:85], v[78:79], v[36:37]
	v_add_f64 v[74:75], v[34:35], v[74:75]
	v_add_f64 v[16:17], v[66:67], -v[16:17]
	v_add_f64 v[86:87], v[20:21], -v[56:57]
	v_fma_f64 v[30:31], v[30:31], v[109:110], v[165:166]
	v_fma_f64 v[12:13], v[12:13], 2.0, -v[78:79]
	v_fma_f64 v[42:43], v[42:43], 2.0, -v[34:35]
	;; [unrolled: 1-line block ×9, first 2 shown]
	v_add_f64 v[64:65], v[52:53], -v[44:45]
	v_fma_f64 v[34:35], v[34:35], 2.0, -v[74:75]
	v_fma_f64 v[44:45], v[66:67], 2.0, -v[16:17]
	;; [unrolled: 1-line block ×3, first 2 shown]
	v_add_f64 v[20:21], v[10:11], v[72:73]
	v_add_f64 v[32:33], v[60:61], -v[32:33]
	v_add_f64 v[78:79], v[68:69], v[62:63]
	v_add_f64 v[30:31], v[46:47], -v[30:31]
	v_add_f64 v[48:49], v[14:15], -v[48:49]
	v_add_f64 v[40:41], v[50:51], -v[40:41]
	v_add_f64 v[72:73], v[54:55], -v[76:77]
	v_add_f64 v[18:19], v[70:71], -v[18:19]
	v_fma_f64 v[62:63], v[34:35], s[6:7], v[56:57]
	v_fma_f64 v[10:11], v[10:11], 2.0, -v[20:21]
	v_fma_f64 v[92:93], v[60:61], 2.0, -v[32:33]
	v_fma_f64 v[60:61], v[68:69], 2.0, -v[78:79]
	v_fma_f64 v[46:47], v[46:47], 2.0, -v[30:31]
	v_fma_f64 v[14:15], v[14:15], 2.0, -v[48:49]
	v_fma_f64 v[50:51], v[50:51], 2.0, -v[40:41]
	v_fma_f64 v[68:69], v[70:71], 2.0, -v[18:19]
	v_fma_f64 v[70:71], v[54:55], 2.0, -v[72:73]
	v_fma_f64 v[98:99], v[44:45], s[0:1], v[62:63]
	v_fma_f64 v[54:55], v[74:75], s[0:1], v[84:85]
	v_fma_f64 v[62:63], v[60:61], s[6:7], v[10:11]
	v_add_f64 v[46:47], v[12:13], -v[46:47]
	v_add_f64 v[38:39], v[42:43], -v[38:39]
	v_mul_f64 v[88:89], v[44:45], s[0:1]
	v_mul_f64 v[90:91], v[16:17], s[0:1]
	;; [unrolled: 1-line block ×3, first 2 shown]
	v_fma_f64 v[44:45], v[56:57], 2.0, -v[98:99]
	v_fma_f64 v[111:112], v[16:17], s[0:1], v[54:55]
	v_fma_f64 v[54:55], v[68:69], s[0:1], v[62:63]
	v_add_f64 v[56:57], v[14:15], -v[50:51]
	v_fma_f64 v[16:17], v[78:79], s[0:1], v[20:21]
	v_fma_f64 v[12:13], v[12:13], 2.0, -v[46:47]
	v_fma_f64 v[42:43], v[42:43], 2.0, -v[38:39]
	v_add_f64 v[109:110], v[46:47], v[64:65]
	v_fma_f64 v[34:35], v[68:69], s[6:7], v[92:93]
	v_add_f64 v[50:51], v[48:49], v[72:73]
	v_fma_f64 v[62:63], v[10:11], 2.0, -v[54:55]
	v_fma_f64 v[10:11], v[14:15], 2.0, -v[56:57]
	v_fma_f64 v[14:15], v[18:19], s[0:1], v[32:33]
	v_add_f64 v[94:95], v[66:67], -v[70:71]
	v_fma_f64 v[70:71], v[18:19], s[0:1], v[16:17]
	v_add_f64 v[42:43], v[12:13], -v[42:43]
	v_fma_f64 v[46:47], v[46:47], 2.0, -v[109:110]
	v_fma_f64 v[60:61], v[60:61], s[6:7], v[34:35]
	v_fma_f64 v[34:35], v[84:85], 2.0, -v[111:112]
	v_add_f64 v[18:19], v[86:87], -v[40:41]
	v_fma_f64 v[84:85], v[78:79], s[6:7], v[14:15]
	v_fma_f64 v[14:15], v[48:49], 2.0, -v[50:51]
	v_fma_f64 v[78:79], v[20:21], 2.0, -v[70:71]
	v_fma_f64 v[12:13], v[12:13], 2.0, -v[42:43]
	v_fma_f64 v[16:17], v[62:63], s[2:3], v[44:45]
	v_fma_f64 v[68:69], v[92:93], 2.0, -v[60:61]
	v_fma_f64 v[48:49], v[54:55], s[4:5], v[98:99]
	v_fma_f64 v[20:21], v[86:87], 2.0, -v[18:19]
	v_fma_f64 v[86:87], v[32:33], 2.0, -v[84:85]
	v_fma_f64 v[32:33], v[14:15], s[6:7], v[46:47]
	s_mov_b32 s7, 0xbfd87de2
	s_mov_b32 s6, s4
	v_fma_f64 v[40:41], v[78:79], s[6:7], v[34:35]
	v_mul_f64 v[80:81], v[74:75], s[0:1]
	v_fma_f64 v[72:73], v[50:51], s[0:1], v[109:110]
	v_fma_f64 v[74:75], v[70:71], s[10:11], v[111:112]
	v_add_f64 v[10:11], v[12:13], -v[10:11]
	v_fma_f64 v[16:17], v[68:69], s[4:5], v[16:17]
	v_fma_f64 v[32:33], v[20:21], s[0:1], v[32:33]
	v_add_f64 v[113:114], v[42:43], v[94:95]
	v_fma_f64 v[40:41], v[86:87], s[10:11], v[40:41]
	v_fma_f64 v[48:49], v[60:61], s[10:11], v[48:49]
	v_mul_f64 v[92:93], v[14:15], s[0:1]
	v_fma_f64 v[14:15], v[18:19], s[0:1], v[72:73]
	v_fma_f64 v[72:73], v[84:85], s[4:5], v[74:75]
	v_fma_f64 v[12:13], v[12:13], 2.0, -v[10:11]
	v_fma_f64 v[44:45], v[44:45], 2.0, -v[16:17]
	v_mul_f64 v[96:97], v[20:21], s[0:1]
	v_fma_f64 v[20:21], v[46:47], 2.0, -v[32:33]
	v_fma_f64 v[34:35], v[34:35], 2.0, -v[40:41]
	;; [unrolled: 1-line block ×4, first 2 shown]
	v_mul_f64 v[98:99], v[50:51], s[0:1]
	v_mul_f64 v[100:101], v[18:19], s[0:1]
	v_fma_f64 v[18:19], v[109:110], 2.0, -v[14:15]
	v_fma_f64 v[50:51], v[111:112], 2.0, -v[72:73]
	v_mul_u32_u24_e32 v74, 0xa0, v125
	v_or_b32_sdwa v74, v74, v173 dst_sel:DWORD dst_unused:UNUSED_PAD src0_sel:DWORD src1_sel:BYTE_0
	v_lshl_add_u32 v109, v74, 3, 0
	ds_write2_b64 v109, v[12:13], v[44:45] offset1:10
	ds_write2_b64 v109, v[20:21], v[34:35] offset0:20 offset1:30
	ds_write2_b64 v109, v[42:43], v[46:47] offset0:40 offset1:50
	;; [unrolled: 1-line block ×7, first 2 shown]
	s_waitcnt lgkmcnt(0)
	s_barrier
	ds_read2_b64 v[18:21], v103 offset1:90
	ds_read2_b64 v[10:13], v107 offset0:104 offset1:224
	v_add_u32_e32 v107, 0x1c00, v103
	ds_read2_b64 v[44:47], v107 offset0:64 offset1:154
	ds_read2_b64 v[48:51], v106 offset0:58 offset1:148
	;; [unrolled: 1-line block ×5, first 2 shown]
	ds_read_b64 v[74:75], v103 offset:10560
	v_cmp_gt_u32_e64 s[0:1], 30, v126
	s_and_saveexec_b64 s[16:17], s[0:1]
	s_cbranch_execz .LBB0_19
; %bb.18:
	ds_read_b64 v[72:73], v103 offset:3600
	ds_read_b64 v[0:1], v103 offset:7440
	;; [unrolled: 1-line block ×3, first 2 shown]
.LBB0_19:
	s_or_b64 exec, exec, s[16:17]
	v_mul_f64 v[8:9], v[8:9], v[24:25]
	v_fma_f64 v[24:25], v[28:29], 2.0, -v[36:37]
	s_waitcnt lgkmcnt(0)
	s_barrier
	v_fma_f64 v[8:9], v[58:59], v[22:23], -v[8:9]
	v_add_f64 v[8:9], v[26:27], -v[8:9]
	v_add_f64 v[22:23], v[8:9], -v[30:31]
	v_fma_f64 v[26:27], v[26:27], 2.0, -v[8:9]
	v_fma_f64 v[30:31], v[52:53], 2.0, -v[64:65]
	;; [unrolled: 1-line block ×4, first 2 shown]
	v_add_f64 v[24:25], v[26:27], -v[24:25]
	v_add_f64 v[28:29], v[22:23], v[90:91]
	v_add_f64 v[36:37], v[8:9], -v[88:89]
	v_add_f64 v[38:39], v[24:25], -v[38:39]
	;; [unrolled: 1-line block ×3, first 2 shown]
	v_fma_f64 v[26:27], v[26:27], 2.0, -v[24:25]
	v_add_u32_e32 v80, 0x800, v103
	v_add_u32_e32 v81, 0x1000, v103
	;; [unrolled: 1-line block ×4, first 2 shown]
	v_add_f64 v[36:37], v[36:37], -v[76:77]
	v_fma_f64 v[24:25], v[24:25], 2.0, -v[38:39]
	v_fma_f64 v[22:23], v[22:23], 2.0, -v[28:29]
	v_add_f64 v[30:31], v[26:27], -v[30:31]
	v_add_f64 v[58:59], v[38:39], v[100:101]
	v_fma_f64 v[64:65], v[84:85], s[10:11], v[28:29]
	v_add_u32_e32 v84, 0x1400, v103
	v_fma_f64 v[8:9], v[8:9], 2.0, -v[36:37]
	v_add_f64 v[66:67], v[24:25], -v[96:97]
	v_fma_f64 v[76:77], v[86:87], s[6:7], v[22:23]
	v_fma_f64 v[60:61], v[60:61], s[4:5], v[36:37]
	v_fma_f64 v[26:27], v[26:27], 2.0, -v[30:31]
	v_add_f64 v[58:59], v[58:59], -v[98:99]
	v_fma_f64 v[70:71], v[70:71], s[6:7], v[64:65]
	v_add_f64 v[56:57], v[30:31], -v[56:57]
	v_fma_f64 v[68:69], v[68:69], s[2:3], v[8:9]
	v_add_f64 v[64:65], v[66:67], -v[92:93]
	v_fma_f64 v[66:67], v[78:79], s[2:3], v[76:77]
	v_fma_f64 v[54:55], v[54:55], s[2:3], v[60:61]
	v_add_f64 v[52:53], v[26:27], -v[52:53]
	v_fma_f64 v[38:39], v[38:39], 2.0, -v[58:59]
	v_fma_f64 v[28:29], v[28:29], 2.0, -v[70:71]
	;; [unrolled: 1-line block ×3, first 2 shown]
	v_fma_f64 v[60:61], v[62:63], s[6:7], v[68:69]
	v_fma_f64 v[24:25], v[24:25], 2.0, -v[64:65]
	v_fma_f64 v[22:23], v[22:23], 2.0, -v[66:67]
	;; [unrolled: 1-line block ×5, first 2 shown]
	ds_write2_b64 v109, v[58:59], v[70:71] offset0:140 offset1:150
	ds_write2_b64 v109, v[38:39], v[28:29] offset0:60 offset1:70
	;; [unrolled: 1-line block ×7, first 2 shown]
	ds_write2_b64 v109, v[26:27], v[8:9] offset1:10
	s_waitcnt lgkmcnt(0)
	s_barrier
	ds_read2_b64 v[36:39], v103 offset1:90
	ds_read2_b64 v[24:27], v80 offset0:104 offset1:224
	ds_read2_b64 v[60:63], v107 offset0:64 offset1:154
	;; [unrolled: 1-line block ×6, first 2 shown]
	ds_read_b64 v[8:9], v103 offset:10560
	s_and_saveexec_b64 s[2:3], s[0:1]
	s_cbranch_execz .LBB0_21
; %bb.20:
	ds_read_b64 v[70:71], v103 offset:3600
	ds_read_b64 v[4:5], v103 offset:7440
	;; [unrolled: 1-line block ×3, first 2 shown]
.LBB0_21:
	s_or_b64 exec, exec, s[2:3]
	v_lshlrev_b32_e32 v22, 1, v126
	v_mov_b32_e32 v23, 0
	v_lshlrev_b64 v[68:69], 4, v[22:23]
	v_mov_b32_e32 v88, s9
	v_add_co_u32_e64 v68, s[2:3], s8, v68
	v_addc_co_u32_e64 v69, s[2:3], v88, v69, s[2:3]
	s_movk_i32 s2, 0x46
	v_add_u32_e32 v80, 0xffffffba, v126
	v_cmp_gt_u32_e64 s[2:3], s2, v126
	v_cndmask_b32_e64 v125, v80, v102, s[2:3]
	v_lshlrev_b32_e32 v80, 1, v125
	v_mov_b32_e32 v81, v23
	v_lshlrev_b64 v[80:81], 4, v[80:81]
	v_add_u32_e32 v22, 40, v22
	v_add_co_u32_e64 v80, s[2:3], s8, v80
	v_lshlrev_b64 v[22:23], 4, v[22:23]
	v_addc_co_u32_e64 v81, s[2:3], v88, v81, s[2:3]
	v_add_co_u32_e64 v22, s[2:3], s8, v22
	v_addc_co_u32_e64 v23, s[2:3], v88, v23, s[2:3]
	v_add_u32_e32 v104, 0x10e, v126
	s_mov_b32 s2, 0xcccd
	global_load_dwordx4 v[76:79], v[68:69], off offset:2416
	global_load_dwordx4 v[84:87], v[68:69], off offset:2400
	;; [unrolled: 1-line block ×6, first 2 shown]
	v_mul_u32_u24_sdwa v22, v104, s2 dst_sel:DWORD dst_unused:UNUSED_PAD src0_sel:WORD_0 src1_sel:DWORD
	v_lshrrev_b32_e32 v161, 23, v22
	v_mul_lo_u16_e32 v22, 0xa0, v161
	v_sub_u16_e32 v162, v104, v22
	v_add_u32_e32 v101, 0x168, v126
	v_lshlrev_b32_e32 v22, 5, v162
	global_load_dwordx4 v[117:120], v22, s[8:9] offset:2416
	global_load_dwordx4 v[121:124], v22, s[8:9] offset:2400
	v_mul_u32_u24_sdwa v22, v101, s2 dst_sel:DWORD dst_unused:UNUSED_PAD src0_sel:WORD_0 src1_sel:DWORD
	v_lshrrev_b32_e32 v22, 23, v22
	v_mul_lo_u16_e32 v22, 0xa0, v22
	v_sub_u16_e32 v163, v101, v22
	v_add_u32_e32 v100, 0x1c2, v126
	v_lshlrev_b32_e32 v22, 5, v163
	global_load_dwordx4 v[127:130], v22, s[8:9] offset:2416
	global_load_dwordx4 v[131:134], v22, s[8:9] offset:2400
	v_mul_u32_u24_sdwa v22, v100, s2 dst_sel:DWORD dst_unused:UNUSED_PAD src0_sel:WORD_0 src1_sel:DWORD
	v_lshrrev_b32_e32 v22, 23, v22
	v_mul_lo_u16_e32 v22, 0xa0, v22
	v_sub_u16_e32 v164, v100, v22
	v_lshlrev_b32_e32 v22, 5, v164
	global_load_dwordx4 v[135:138], v22, s[8:9] offset:2400
	global_load_dwordx4 v[139:142], v22, s[8:9] offset:2416
	s_mov_b32 s2, 0xe8584caa
	s_mov_b32 s3, 0xbfebb67a
	;; [unrolled: 1-line block ×4, first 2 shown]
	s_waitcnt vmcnt(0) lgkmcnt(0)
	s_barrier
	v_mul_f64 v[22:23], v[26:27], v[86:87]
	v_mul_f64 v[80:81], v[12:13], v[86:87]
	;; [unrolled: 1-line block ×14, first 2 shown]
	v_fma_f64 v[94:95], v[12:13], v[84:85], v[22:23]
	v_mul_f64 v[155:156], v[8:9], v[129:130]
	v_mul_f64 v[153:154], v[54:55], v[133:134]
	;; [unrolled: 1-line block ×4, first 2 shown]
	v_fma_f64 v[98:99], v[26:27], v[84:85], -v[80:81]
	v_fma_f64 v[96:97], v[44:45], v[76:77], v[86:87]
	v_fma_f64 v[78:79], v[60:61], v[76:77], -v[78:79]
	v_mul_f64 v[159:160], v[6:7], v[141:142]
	v_fma_f64 v[76:77], v[50:51], v[113:114], v[88:89]
	v_fma_f64 v[80:81], v[40:41], v[109:110], v[143:144]
	;; [unrolled: 1-line block ×3, first 2 shown]
	v_fma_f64 v[90:91], v[64:65], v[90:91], -v[92:93]
	v_fma_f64 v[92:93], v[46:47], v[105:106], v[147:148]
	v_mul_f64 v[151:152], v[58:59], v[119:120]
	v_mul_f64 v[157:158], v[4:5], v[137:138]
	;; [unrolled: 1-line block ×4, first 2 shown]
	v_fma_f64 v[86:87], v[66:67], v[113:114], -v[115:116]
	v_fma_f64 v[66:67], v[56:57], v[109:110], -v[111:112]
	v_fma_f64 v[84:85], v[62:63], v[105:106], -v[107:108]
	v_fma_f64 v[48:49], v[52:53], v[121:122], -v[123:124]
	v_fma_f64 v[52:53], v[54:55], v[131:132], -v[133:134]
	v_add_f64 v[12:13], v[94:95], v[96:97]
	v_fma_f64 v[54:55], v[74:75], v[127:128], v[155:156]
	v_fma_f64 v[40:41], v[8:9], v[127:128], -v[129:130]
	v_add_f64 v[8:9], v[88:89], v[92:93]
	v_fma_f64 v[74:75], v[2:3], v[139:140], v[159:160]
	v_add_f64 v[2:3], v[76:77], v[80:81]
	v_mul_f64 v[119:120], v[42:43], v[119:120]
	v_fma_f64 v[44:45], v[32:33], v[121:122], v[149:150]
	v_fma_f64 v[46:47], v[42:43], v[117:118], v[151:152]
	;; [unrolled: 1-line block ×4, first 2 shown]
	v_fma_f64 v[62:63], v[4:5], v[135:136], -v[137:138]
	v_add_f64 v[0:1], v[18:19], v[94:95]
	v_add_f64 v[4:5], v[98:99], -v[78:79]
	v_fma_f64 v[12:13], v[12:13], -0.5, v[18:19]
	v_add_f64 v[18:19], v[90:91], -v[84:85]
	v_fma_f64 v[8:9], v[8:9], -0.5, v[20:21]
	v_add_f64 v[22:23], v[14:15], v[76:77]
	v_fma_f64 v[2:3], v[2:3], -0.5, v[14:15]
	v_add_f64 v[14:15], v[86:87], -v[66:67]
	v_fma_f64 v[26:27], v[58:59], v[117:118], -v[119:120]
	v_add_f64 v[32:33], v[44:45], v[46:47]
	v_fma_f64 v[64:65], v[6:7], v[139:140], -v[141:142]
	v_add_f64 v[6:7], v[20:21], v[88:89]
	v_fma_f64 v[20:21], v[4:5], s[2:3], v[12:13]
	v_fma_f64 v[4:5], v[4:5], s[4:5], v[12:13]
	;; [unrolled: 1-line block ×4, first 2 shown]
	v_add_f64 v[18:19], v[22:23], v[80:81]
	v_add_f64 v[22:23], v[42:43], v[54:55]
	v_fma_f64 v[34:35], v[14:15], s[2:3], v[2:3]
	v_fma_f64 v[2:3], v[14:15], s[4:5], v[2:3]
	v_add_f64 v[14:15], v[50:51], v[74:75]
	v_add_f64 v[56:57], v[16:17], v[44:45]
	v_fma_f64 v[16:17], v[32:33], -0.5, v[16:17]
	v_add_f64 v[32:33], v[48:49], -v[26:27]
	v_add_f64 v[58:59], v[10:11], v[42:43]
	v_fma_f64 v[10:11], v[22:23], -0.5, v[10:11]
	v_add_f64 v[22:23], v[52:53], -v[40:41]
	;; [unrolled: 3-line block ×3, first 2 shown]
	v_add_f64 v[0:1], v[0:1], v[96:97]
	v_add_f64 v[6:7], v[6:7], v[92:93]
	;; [unrolled: 1-line block ×3, first 2 shown]
	v_fma_f64 v[111:112], v[32:33], s[2:3], v[16:17]
	v_fma_f64 v[16:17], v[32:33], s[4:5], v[16:17]
	v_add_f64 v[32:33], v[58:59], v[54:55]
	v_fma_f64 v[113:114], v[22:23], s[2:3], v[10:11]
	v_add_f64 v[56:57], v[60:61], v[74:75]
	v_fma_f64 v[60:61], v[72:73], s[2:3], v[14:15]
	v_fma_f64 v[58:59], v[72:73], s[4:5], v[14:15]
	s_movk_i32 s2, 0x45
	v_fma_f64 v[10:11], v[22:23], s[4:5], v[10:11]
	ds_write2_b64 v103, v[0:1], v[20:21] offset1:160
	ds_write_b64 v103, v[4:5] offset:2560
	v_mov_b32_e32 v0, 0xf00
	v_cmp_lt_u32_e64 s[2:3], s2, v126
	v_cndmask_b32_e64 v0, 0, v0, s[2:3]
	v_lshlrev_b32_e32 v1, 3, v125
	v_lshl_add_u32 v107, v126, 3, 0
	v_add3_u32 v106, 0, v0, v1
	v_add_u32_e32 v0, 0xe00, v107
	ds_write2_b64 v106, v[6:7], v[12:13] offset1:160
	ds_write_b64 v106, v[8:9] offset:2560
	ds_write2_b64 v0, v[18:19], v[34:35] offset0:52 offset1:212
	ds_write_b64 v107, v[2:3] offset:6560
	v_mul_u32_u24_e32 v0, 0xf00, v161
	v_lshlrev_b32_e32 v1, 3, v162
	v_add3_u32 v108, 0, v0, v1
	ds_write2_b64 v108, v[109:110], v[111:112] offset1:160
	ds_write_b64 v108, v[16:17] offset:2560
	v_lshl_add_u32 v109, v163, 3, 0
	v_add_u32_e32 v0, 0x1c00, v109
	v_lshl_add_u32 v105, v164, 3, 0
	ds_write2_b64 v0, v[32:33], v[113:114] offset0:64 offset1:224
	ds_write_b64 v109, v[10:11] offset:10240
	s_and_saveexec_b64 s[2:3], s[0:1]
	s_cbranch_execz .LBB0_23
; %bb.22:
	v_add_u32_e32 v0, 0x1c00, v105
	ds_write2_b64 v0, v[56:57], v[60:61] offset0:64 offset1:224
	ds_write_b64 v105, v[58:59] offset:10240
.LBB0_23:
	s_or_b64 exec, exec, s[2:3]
	v_add_u32_e32 v12, 0x1000, v103
	s_waitcnt lgkmcnt(0)
	s_barrier
	v_add_u32_e32 v4, 0x800, v103
	v_add_u32_e32 v8, 0x1c00, v103
	ds_read2_b64 v[16:19], v12 offset0:58 offset1:148
	v_add_u32_e32 v12, 0x400, v103
	v_add_u32_e32 v20, 0x2000, v103
	v_add_u32_e32 v32, 0x1400, v103
	ds_read2_b64 v[0:3], v103 offset1:90
	ds_read2_b64 v[4:7], v4 offset0:104 offset1:224
	ds_read2_b64 v[8:11], v8 offset0:64 offset1:154
	;; [unrolled: 1-line block ×5, first 2 shown]
	ds_read_b64 v[72:73], v103 offset:10560
	s_and_saveexec_b64 s[2:3], s[0:1]
	s_cbranch_execz .LBB0_25
; %bb.24:
	ds_read_b64 v[56:57], v103 offset:3600
	ds_read_b64 v[60:61], v103 offset:7440
	;; [unrolled: 1-line block ×3, first 2 shown]
.LBB0_25:
	s_or_b64 exec, exec, s[2:3]
	v_add_f64 v[94:95], v[94:95], -v[96:97]
	v_add_f64 v[96:97], v[90:91], v[84:85]
	v_add_f64 v[112:113], v[86:87], v[66:67]
	;; [unrolled: 1-line block ×3, first 2 shown]
	v_add_f64 v[88:89], v[88:89], -v[92:93]
	v_add_f64 v[86:87], v[28:29], v[86:87]
	v_add_f64 v[76:77], v[76:77], -v[80:81]
	v_add_f64 v[110:111], v[98:99], v[78:79]
	s_mov_b32 s2, 0xe8584caa
	v_fma_f64 v[38:39], v[96:97], -0.5, v[38:39]
	v_fma_f64 v[28:29], v[112:113], -0.5, v[28:29]
	s_mov_b32 s3, 0x3febb67a
	s_mov_b32 s5, 0xbfebb67a
	;; [unrolled: 1-line block ×3, first 2 shown]
	v_add_f64 v[80:81], v[90:91], v[84:85]
	v_add_f64 v[90:91], v[48:49], v[26:27]
	;; [unrolled: 1-line block ×3, first 2 shown]
	v_fma_f64 v[84:85], v[88:89], s[2:3], v[38:39]
	v_fma_f64 v[38:39], v[88:89], s[4:5], v[38:39]
	v_add_f64 v[66:67], v[52:53], v[40:41]
	v_fma_f64 v[88:89], v[76:77], s[2:3], v[28:29]
	v_fma_f64 v[28:29], v[76:77], s[4:5], v[28:29]
	v_add_f64 v[76:77], v[62:63], v[64:65]
	v_add_f64 v[98:99], v[36:37], v[98:99]
	v_fma_f64 v[36:37], v[110:111], -0.5, v[36:37]
	v_add_f64 v[48:49], v[30:31], v[48:49]
	v_fma_f64 v[30:31], v[90:91], -0.5, v[30:31]
	v_add_f64 v[44:45], v[44:45], -v[46:47]
	v_add_f64 v[46:47], v[24:25], v[52:53]
	v_fma_f64 v[24:25], v[66:67], -0.5, v[24:25]
	v_add_f64 v[42:43], v[42:43], -v[54:55]
	;; [unrolled: 3-line block ×3, first 2 shown]
	v_add_f64 v[78:79], v[98:99], v[78:79]
	v_fma_f64 v[92:93], v[94:95], s[2:3], v[36:37]
	v_fma_f64 v[36:37], v[94:95], s[4:5], v[36:37]
	v_add_f64 v[26:27], v[48:49], v[26:27]
	v_fma_f64 v[48:49], v[44:45], s[2:3], v[30:31]
	v_fma_f64 v[30:31], v[44:45], s[4:5], v[30:31]
	v_add_f64 v[40:41], v[46:47], v[40:41]
	v_fma_f64 v[44:45], v[42:43], s[2:3], v[24:25]
	v_add_f64 v[62:63], v[52:53], v[64:65]
	v_fma_f64 v[66:67], v[50:51], s[2:3], v[54:55]
	v_fma_f64 v[64:65], v[50:51], s[4:5], v[54:55]
	;; [unrolled: 1-line block ×3, first 2 shown]
	s_waitcnt lgkmcnt(0)
	s_barrier
	ds_write2_b64 v103, v[78:79], v[92:93] offset1:160
	ds_write_b64 v103, v[36:37] offset:2560
	ds_write2_b64 v106, v[80:81], v[84:85] offset1:160
	ds_write_b64 v106, v[38:39] offset:2560
	v_add_u32_e32 v36, 0xe00, v107
	ds_write2_b64 v36, v[86:87], v[88:89] offset0:52 offset1:212
	ds_write_b64 v107, v[28:29] offset:6560
	ds_write2_b64 v108, v[26:27], v[48:49] offset1:160
	ds_write_b64 v108, v[30:31] offset:2560
	v_add_u32_e32 v26, 0x1c00, v109
	ds_write2_b64 v26, v[40:41], v[44:45] offset0:64 offset1:224
	ds_write_b64 v109, v[24:25] offset:10240
	s_and_saveexec_b64 s[2:3], s[0:1]
	s_cbranch_execz .LBB0_27
; %bb.26:
	v_add_u32_e32 v24, 0x1c00, v105
	ds_write2_b64 v24, v[62:63], v[66:67] offset0:64 offset1:224
	ds_write_b64 v105, v[64:65] offset:10240
.LBB0_27:
	s_or_b64 exec, exec, s[2:3]
	v_add_u32_e32 v28, 0x800, v103
	v_add_u32_e32 v36, 0x1c00, v103
	;; [unrolled: 1-line block ×6, first 2 shown]
	s_waitcnt lgkmcnt(0)
	s_barrier
	ds_read2_b64 v[24:27], v103 offset1:90
	ds_read2_b64 v[28:31], v28 offset0:104 offset1:224
	ds_read2_b64 v[36:39], v36 offset0:64 offset1:154
	;; [unrolled: 1-line block ×6, first 2 shown]
	ds_read_b64 v[74:75], v103 offset:10560
	s_and_saveexec_b64 s[2:3], s[0:1]
	s_cbranch_execz .LBB0_29
; %bb.28:
	ds_read_b64 v[62:63], v103 offset:3600
	ds_read_b64 v[66:67], v103 offset:7440
	;; [unrolled: 1-line block ×3, first 2 shown]
.LBB0_29:
	s_or_b64 exec, exec, s[2:3]
	s_and_saveexec_b64 s[2:3], vcc
	s_cbranch_execz .LBB0_32
; %bb.30:
	v_lshlrev_b32_e32 v70, 1, v101
	v_mov_b32_e32 v71, 0
	v_lshlrev_b64 v[77:78], 4, v[70:71]
	v_mov_b32_e32 v81, s9
	v_add_co_u32_e32 v70, vcc, s8, v77
	v_addc_co_u32_e32 v77, vcc, v81, v78, vcc
	v_add_co_u32_e32 v88, vcc, 0x1d60, v70
	v_addc_co_u32_e32 v89, vcc, 0, v77, vcc
	;; [unrolled: 2-line block ×3, first 2 shown]
	v_lshlrev_b32_e32 v70, 1, v104
	global_load_dwordx4 v[77:80], v[90:91], off offset:3424
	global_load_dwordx4 v[84:87], v[88:89], off offset:16
	v_lshlrev_b64 v[88:89], 4, v[70:71]
	s_movk_i32 s2, 0x1d60
	v_add_co_u32_e32 v70, vcc, s8, v88
	v_addc_co_u32_e32 v88, vcc, v81, v89, vcc
	v_add_co_u32_e32 v96, vcc, s2, v70
	s_movk_i32 s6, 0x1000
	v_addc_co_u32_e32 v97, vcc, 0, v88, vcc
	v_add_u32_e32 v76, 0xb4, v126
	v_add_co_u32_e32 v98, vcc, s6, v70
	v_addc_co_u32_e32 v99, vcc, 0, v88, vcc
	v_lshlrev_b32_e32 v70, 1, v76
	global_load_dwordx4 v[88:91], v[98:99], off offset:3424
	global_load_dwordx4 v[92:95], v[96:97], off offset:16
	v_lshlrev_b64 v[96:97], 4, v[70:71]
	s_mov_b32 s5, 0x3febb67a
	v_add_co_u32_e32 v70, vcc, s8, v96
	v_addc_co_u32_e32 v96, vcc, v81, v97, vcc
	v_add_co_u32_e32 v109, vcc, s2, v70
	v_addc_co_u32_e32 v110, vcc, 0, v96, vcc
	;; [unrolled: 2-line block ×3, first 2 shown]
	global_load_dwordx4 v[96:99], v[111:112], off offset:3424
	global_load_dwordx4 v[105:108], v[109:110], off offset:16
	v_lshlrev_b32_e32 v70, 1, v102
	v_lshlrev_b64 v[109:110], 4, v[70:71]
	s_movk_i32 s7, 0x3c0
	v_add_co_u32_e32 v70, vcc, s8, v109
	v_addc_co_u32_e32 v81, vcc, v81, v110, vcc
	v_add_co_u32_e32 v117, vcc, s2, v70
	v_addc_co_u32_e32 v118, vcc, 0, v81, vcc
	;; [unrolled: 2-line block ×3, first 2 shown]
	global_load_dwordx4 v[109:112], v[119:120], off offset:3424
	global_load_dwordx4 v[113:116], v[117:118], off offset:16
	v_add_co_u32_e32 v127, vcc, s2, v68
	v_addc_co_u32_e32 v128, vcc, 0, v69, vcc
	v_add_co_u32_e32 v68, vcc, s6, v68
	v_addc_co_u32_e32 v69, vcc, 0, v69, vcc
	global_load_dwordx4 v[117:120], v[68:69], off offset:3424
	global_load_dwordx4 v[121:124], v[127:128], off offset:16
	s_mov_b32 s2, 0xe8584caa
	s_mov_b32 s3, 0xbfebb67a
	s_mov_b32 s4, s2
	s_waitcnt vmcnt(9)
	v_mul_f64 v[68:69], v[34:35], v[79:80]
	s_waitcnt vmcnt(8)
	v_mul_f64 v[127:128], v[72:73], v[86:87]
	s_waitcnt lgkmcnt(1)
	v_mul_f64 v[79:80], v[54:55], v[79:80]
	s_waitcnt lgkmcnt(0)
	v_mul_f64 v[86:87], v[74:75], v[86:87]
	v_fma_f64 v[54:55], v[54:55], v[77:78], -v[68:69]
	v_fma_f64 v[68:69], v[74:75], v[84:85], -v[127:128]
	v_fma_f64 v[74:75], v[34:35], v[77:78], v[79:80]
	v_fma_f64 v[72:73], v[72:73], v[84:85], v[86:87]
	s_waitcnt vmcnt(7)
	v_mul_f64 v[129:130], v[32:33], v[90:91]
	s_waitcnt vmcnt(6)
	v_mul_f64 v[131:132], v[22:23], v[94:95]
	v_mul_f64 v[34:35], v[52:53], v[90:91]
	v_mul_f64 v[77:78], v[50:51], v[94:95]
	v_add_f64 v[90:91], v[54:55], v[68:69]
	v_fma_f64 v[52:53], v[52:53], v[88:89], -v[129:130]
	v_fma_f64 v[88:89], v[32:33], v[88:89], v[34:35]
	v_add_f64 v[32:33], v[74:75], -v[72:73]
	v_add_f64 v[34:35], v[28:29], v[54:55]
	v_fma_f64 v[28:29], v[90:91], -0.5, v[28:29]
	v_add_f64 v[54:55], v[54:55], -v[68:69]
	s_waitcnt vmcnt(5)
	v_mul_f64 v[79:80], v[18:19], v[98:99]
	s_waitcnt vmcnt(4)
	v_mul_f64 v[84:85], v[20:21], v[107:108]
	v_mul_f64 v[86:87], v[42:43], v[98:99]
	;; [unrolled: 1-line block ×3, first 2 shown]
	v_add_f64 v[98:99], v[74:75], v[72:73]
	v_fma_f64 v[107:108], v[50:51], v[92:93], -v[131:132]
	v_fma_f64 v[77:78], v[22:23], v[92:93], v[77:78]
	v_add_f64 v[22:23], v[34:35], v[68:69]
	v_fma_f64 v[92:93], v[42:43], v[96:97], -v[79:80]
	v_fma_f64 v[84:85], v[48:49], v[105:106], -v[84:85]
	v_fma_f64 v[34:35], v[32:33], s[2:3], v[28:29]
	v_fma_f64 v[50:51], v[32:33], s[4:5], v[28:29]
	v_fma_f64 v[90:91], v[98:99], -0.5, v[4:5]
	v_add_f64 v[42:43], v[52:53], v[107:108]
	v_add_f64 v[4:5], v[4:5], v[74:75]
	;; [unrolled: 1-line block ×3, first 2 shown]
	v_fma_f64 v[86:87], v[18:19], v[96:97], v[86:87]
	v_add_f64 v[79:80], v[92:93], v[84:85]
	v_add_f64 v[68:69], v[88:89], -v[77:78]
	v_add_f64 v[18:19], v[52:53], -v[107:108]
	v_fma_f64 v[32:33], v[54:55], s[4:5], v[90:91]
	v_fma_f64 v[48:49], v[54:55], s[2:3], v[90:91]
	v_fma_f64 v[42:43], v[42:43], -0.5, v[46:47]
	v_add_f64 v[46:47], v[46:47], v[52:53]
	v_fma_f64 v[90:91], v[20:21], v[105:106], v[94:95]
	v_fma_f64 v[28:29], v[28:29], -0.5, v[14:15]
	v_add_f64 v[20:21], v[4:5], v[72:73]
	v_add_f64 v[4:5], v[14:15], v[88:89]
	v_fma_f64 v[14:15], v[79:80], -0.5, v[44:45]
	s_waitcnt vmcnt(3)
	v_mul_f64 v[88:89], v[16:17], v[111:112]
	s_waitcnt vmcnt(2)
	v_mul_f64 v[94:95], v[10:11], v[115:116]
	v_add_f64 v[79:80], v[46:47], v[107:108]
	v_add_f64 v[46:47], v[86:87], v[90:91]
	v_fma_f64 v[54:55], v[68:69], s[2:3], v[42:43]
	v_fma_f64 v[74:75], v[68:69], s[4:5], v[42:43]
	v_add_f64 v[68:69], v[86:87], -v[90:91]
	v_fma_f64 v[52:53], v[18:19], s[4:5], v[28:29]
	v_fma_f64 v[72:73], v[18:19], s[2:3], v[28:29]
	v_add_f64 v[77:78], v[4:5], v[77:78]
	v_add_f64 v[4:5], v[44:45], v[92:93]
	v_add_f64 v[28:29], v[92:93], -v[84:85]
	v_fma_f64 v[44:45], v[46:47], -0.5, v[12:13]
	v_fma_f64 v[46:47], v[40:41], v[109:110], -v[88:89]
	v_fma_f64 v[88:89], v[38:39], v[113:114], -v[94:95]
	v_mul_f64 v[92:93], v[40:41], v[111:112]
	v_mul_f64 v[38:39], v[38:39], v[115:116]
	s_waitcnt vmcnt(1)
	v_mul_f64 v[94:95], v[6:7], v[119:120]
	v_fma_f64 v[42:43], v[68:69], s[2:3], v[14:15]
	s_waitcnt vmcnt(0)
	v_mul_f64 v[96:97], v[8:9], v[123:124]
	v_fma_f64 v[14:15], v[68:69], s[4:5], v[14:15]
	v_add_f64 v[18:19], v[4:5], v[84:85]
	v_add_f64 v[4:5], v[46:47], v[88:89]
	v_fma_f64 v[68:69], v[16:17], v[109:110], v[92:93]
	v_fma_f64 v[10:11], v[10:11], v[113:114], v[38:39]
	v_fma_f64 v[84:85], v[30:31], v[117:118], -v[94:95]
	v_mul_f64 v[16:17], v[30:31], v[119:120]
	v_mul_f64 v[30:31], v[36:37], v[123:124]
	v_fma_f64 v[40:41], v[28:29], s[4:5], v[44:45]
	v_fma_f64 v[92:93], v[36:37], v[121:122], -v[96:97]
	v_add_f64 v[36:37], v[12:13], v[86:87]
	v_fma_f64 v[12:13], v[28:29], s[2:3], v[44:45]
	v_fma_f64 v[28:29], v[4:5], -0.5, v[26:27]
	v_add_f64 v[4:5], v[68:69], v[10:11]
	v_fma_f64 v[86:87], v[6:7], v[117:118], v[16:17]
	v_fma_f64 v[30:31], v[8:9], v[121:122], v[30:31]
	v_add_f64 v[38:39], v[68:69], -v[10:11]
	v_add_f64 v[44:45], v[84:85], v[92:93]
	v_add_f64 v[16:17], v[36:37], v[90:91]
	;; [unrolled: 1-line block ×3, first 2 shown]
	v_add_f64 v[26:27], v[46:47], -v[88:89]
	v_fma_f64 v[36:37], v[4:5], -0.5, v[2:3]
	v_add_f64 v[46:47], v[2:3], v[68:69]
	v_add_f64 v[90:91], v[86:87], v[30:31]
	v_fma_f64 v[4:5], v[38:39], s[2:3], v[28:29]
	v_fma_f64 v[44:45], v[44:45], -0.5, v[24:25]
	v_add_f64 v[68:69], v[86:87], -v[30:31]
	v_fma_f64 v[8:9], v[38:39], s[4:5], v[28:29]
	v_add_f64 v[28:29], v[6:7], v[88:89]
	v_fma_f64 v[2:3], v[26:27], s[4:5], v[36:37]
	v_fma_f64 v[6:7], v[26:27], s[2:3], v[36:37]
	v_add_f64 v[26:27], v[46:47], v[10:11]
	v_add_f64 v[10:11], v[24:25], v[84:85]
	v_add_f64 v[24:25], v[84:85], -v[92:93]
	v_fma_f64 v[84:85], v[90:91], -0.5, v[0:1]
	v_add_f64 v[0:1], v[0:1], v[86:87]
	v_mad_u64_u32 v[88:89], s[10:11], s12, v126, 0
	v_fma_f64 v[38:39], v[68:69], s[2:3], v[44:45]
	v_fma_f64 v[46:47], v[68:69], s[4:5], v[44:45]
	v_add_f64 v[86:87], v[10:11], v[92:93]
	v_mov_b32_e32 v10, v89
	v_fma_f64 v[36:37], v[24:25], s[4:5], v[84:85]
	v_fma_f64 v[44:45], v[24:25], s[2:3], v[84:85]
	v_add_f64 v[84:85], v[0:1], v[30:31]
	v_add_u32_e32 v30, 0x1e0, v126
	v_mad_u64_u32 v[24:25], s[10:11], s12, v30, 0
	v_mad_u64_u32 v[10:11], s[10:11], s13, v126, v[10:11]
	;; [unrolled: 1-line block ×3, first 2 shown]
	v_mov_b32_e32 v89, v10
	v_add_u32_e32 v31, 0x3c0, v126
	v_mov_b32_e32 v1, s15
	v_add_co_u32_e32 v0, vcc, s14, v82
	v_lshlrev_b64 v[10:11], 4, v[88:89]
	v_mad_u64_u32 v[68:69], s[10:11], s12, v31, 0
	v_addc_co_u32_e32 v1, vcc, v1, v83, vcc
	v_add_co_u32_e32 v10, vcc, v0, v10
	v_addc_co_u32_e32 v11, vcc, v1, v11, vcc
	v_mov_b32_e32 v25, v30
	global_store_dwordx4 v[10:11], v[84:87], off
	v_lshlrev_b64 v[10:11], 4, v[24:25]
	v_mov_b32_e32 v24, v69
	v_mad_u64_u32 v[24:25], s[10:11], s13, v31, v[24:25]
	v_add_co_u32_e32 v10, vcc, v0, v10
	v_mov_b32_e32 v69, v24
	v_mad_u64_u32 v[24:25], s[10:11], s12, v102, 0
	v_addc_co_u32_e32 v11, vcc, v1, v11, vcc
	v_mad_u64_u32 v[30:31], s[10:11], s13, v102, v[25:26]
	v_add_u32_e32 v31, 0x23a, v126
	global_store_dwordx4 v[10:11], v[44:47], off
	v_lshlrev_b64 v[10:11], 4, v[68:69]
	v_mad_u64_u32 v[44:45], s[10:11], s12, v31, 0
	v_add_co_u32_e32 v10, vcc, v0, v10
	v_addc_co_u32_e32 v11, vcc, v1, v11, vcc
	v_mov_b32_e32 v25, v30
	global_store_dwordx4 v[10:11], v[36:39], off
	v_lshlrev_b64 v[10:11], 4, v[24:25]
	v_mov_b32_e32 v24, v45
	v_mad_u64_u32 v[24:25], s[10:11], s13, v31, v[24:25]
	v_add_co_u32_e32 v10, vcc, v0, v10
	v_addc_co_u32_e32 v11, vcc, v1, v11, vcc
	global_store_dwordx4 v[10:11], v[26:29], off
	v_mov_b32_e32 v45, v24
	v_add_u32_e32 v26, 0x41a, v126
	v_mad_u64_u32 v[24:25], s[10:11], s12, v26, 0
	s_mov_b32 s14, 0x88888889
	v_mul_hi_u32 v27, v76, s14
	v_lshlrev_b64 v[10:11], 4, v[44:45]
	v_mad_u64_u32 v[25:26], s[10:11], s13, v26, v[25:26]
	v_add_co_u32_e32 v10, vcc, v0, v10
	v_lshrrev_b32_e32 v26, 8, v27
	v_addc_co_u32_e32 v11, vcc, v1, v11, vcc
	v_mad_u32_u24 v28, v26, s7, v76
	v_mad_u64_u32 v[26:27], s[10:11], s12, v28, 0
	global_store_dwordx4 v[10:11], v[6:9], off
	s_nop 0
	v_lshlrev_b64 v[6:7], 4, v[24:25]
	v_mov_b32_e32 v8, v27
	v_add_co_u32_e32 v6, vcc, v0, v6
	v_addc_co_u32_e32 v7, vcc, v1, v7, vcc
	global_store_dwordx4 v[6:7], v[2:5], off
	v_add_u32_e32 v6, 0x1e0, v28
	v_mad_u64_u32 v[8:9], s[10:11], s13, v28, v[8:9]
	v_mad_u64_u32 v[4:5], s[10:11], s12, v6, 0
	v_mov_b32_e32 v27, v8
	v_add_u32_e32 v8, 0x3c0, v28
	v_mad_u64_u32 v[5:6], s[10:11], s13, v6, v[5:6]
	v_lshlrev_b64 v[2:3], 4, v[26:27]
	v_mad_u64_u32 v[6:7], s[10:11], s12, v8, 0
	v_add_co_u32_e32 v2, vcc, v0, v2
	v_addc_co_u32_e32 v3, vcc, v1, v3, vcc
	global_store_dwordx4 v[2:3], v[16:19], off
	v_lshlrev_b64 v[2:3], 4, v[4:5]
	v_mov_b32_e32 v4, v7
	v_mad_u64_u32 v[4:5], s[10:11], s13, v8, v[4:5]
	v_mul_hi_u32 v5, v104, s14
	v_add_co_u32_e32 v2, vcc, v0, v2
	v_mov_b32_e32 v7, v4
	v_lshrrev_b32_e32 v4, 8, v5
	v_mad_u32_u24 v8, v4, s7, v104
	v_mad_u64_u32 v[4:5], s[10:11], s12, v8, 0
	v_addc_co_u32_e32 v3, vcc, v1, v3, vcc
	global_store_dwordx4 v[2:3], v[12:15], off
	v_lshlrev_b64 v[2:3], 4, v[6:7]
	v_mad_u64_u32 v[5:6], s[10:11], s13, v8, v[5:6]
	v_add_u32_e32 v9, 0x1e0, v8
	v_mad_u64_u32 v[6:7], s[10:11], s12, v9, 0
	v_add_co_u32_e32 v2, vcc, v0, v2
	v_addc_co_u32_e32 v3, vcc, v1, v3, vcc
	global_store_dwordx4 v[2:3], v[40:43], off
	v_lshlrev_b64 v[2:3], 4, v[4:5]
	v_mov_b32_e32 v4, v7
	v_mad_u64_u32 v[4:5], s[10:11], s13, v9, v[4:5]
	v_add_co_u32_e32 v2, vcc, v0, v2
	v_addc_co_u32_e32 v3, vcc, v1, v3, vcc
	v_mov_b32_e32 v7, v4
	global_store_dwordx4 v[2:3], v[77:80], off
	v_lshlrev_b64 v[2:3], 4, v[6:7]
	v_add_u32_e32 v6, 0x3c0, v8
	v_mad_u64_u32 v[4:5], s[10:11], s12, v6, 0
	v_mul_hi_u32 v7, v101, s14
	v_add_co_u32_e32 v2, vcc, v0, v2
	v_mad_u64_u32 v[5:6], s[10:11], s13, v6, v[5:6]
	v_lshrrev_b32_e32 v6, 8, v7
	v_mad_u32_u24 v8, v6, s7, v101
	v_mad_u64_u32 v[6:7], s[10:11], s12, v8, 0
	v_addc_co_u32_e32 v3, vcc, v1, v3, vcc
	global_store_dwordx4 v[2:3], v[72:75], off
	v_lshlrev_b64 v[2:3], 4, v[4:5]
	v_mov_b32_e32 v4, v7
	v_mad_u64_u32 v[4:5], s[10:11], s13, v8, v[4:5]
	v_add_co_u32_e32 v2, vcc, v0, v2
	v_addc_co_u32_e32 v3, vcc, v1, v3, vcc
	v_mov_b32_e32 v7, v4
	global_store_dwordx4 v[2:3], v[52:55], off
	v_lshlrev_b64 v[2:3], 4, v[6:7]
	v_add_u32_e32 v6, 0x1e0, v8
	v_mad_u64_u32 v[4:5], s[10:11], s12, v6, 0
	v_add_u32_e32 v8, 0x3c0, v8
	v_add_co_u32_e32 v2, vcc, v0, v2
	v_mad_u64_u32 v[5:6], s[10:11], s13, v6, v[5:6]
	v_mad_u64_u32 v[6:7], s[10:11], s12, v8, 0
	v_addc_co_u32_e32 v3, vcc, v1, v3, vcc
	global_store_dwordx4 v[2:3], v[20:23], off
	v_lshlrev_b64 v[2:3], 4, v[4:5]
	v_mov_b32_e32 v4, v7
	v_mad_u64_u32 v[4:5], s[10:11], s13, v8, v[4:5]
	v_add_co_u32_e32 v2, vcc, v0, v2
	v_addc_co_u32_e32 v3, vcc, v1, v3, vcc
	v_mov_b32_e32 v7, v4
	global_store_dwordx4 v[2:3], v[48:51], off
	v_lshlrev_b64 v[2:3], 4, v[6:7]
	v_add_co_u32_e32 v2, vcc, v0, v2
	v_addc_co_u32_e32 v3, vcc, v1, v3, vcc
	global_store_dwordx4 v[2:3], v[32:35], off
	s_and_b64 exec, exec, s[0:1]
	s_cbranch_execz .LBB0_32
; %bb.31:
	v_subrev_u32_e32 v2, 30, v126
	v_cndmask_b32_e64 v2, v2, v100, s[0:1]
	v_lshlrev_b32_e32 v70, 1, v2
	v_lshlrev_b64 v[2:3], 4, v[70:71]
	v_mov_b32_e32 v4, s9
	v_add_co_u32_e32 v2, vcc, s8, v2
	v_addc_co_u32_e32 v7, vcc, v4, v3, vcc
	v_add_co_u32_e32 v6, vcc, 0x1d60, v2
	s_mov_b64 s[0:1], vcc
	v_add_co_u32_e32 v2, vcc, s6, v2
	v_addc_co_u32_e32 v3, vcc, 0, v7, vcc
	v_addc_co_u32_e64 v7, vcc, 0, v7, s[0:1]
	global_load_dwordx4 v[2:5], v[2:3], off offset:3424
	v_add_u32_e32 v21, 0x3a2, v126
	global_load_dwordx4 v[6:9], v[6:7], off offset:16
	v_mad_u64_u32 v[10:11], s[0:1], s12, v100, 0
	v_mad_u64_u32 v[12:13], s[0:1], s12, v21, 0
	v_add_u32_e32 v23, 0x582, v126
	v_mad_u64_u32 v[14:15], s[0:1], s12, v23, 0
	v_mad_u64_u32 v[16:17], s[0:1], s13, v100, v[11:12]
	v_mov_b32_e32 v11, v13
	v_mad_u64_u32 v[21:22], s[0:1], s13, v21, v[11:12]
	v_mov_b32_e32 v13, v15
	v_mov_b32_e32 v11, v16
	s_waitcnt vmcnt(1)
	v_mul_f64 v[17:18], v[66:67], v[4:5]
	v_mul_f64 v[4:5], v[60:61], v[4:5]
	s_waitcnt vmcnt(0)
	v_mul_f64 v[19:20], v[64:65], v[8:9]
	v_mul_f64 v[8:9], v[58:59], v[8:9]
	v_fma_f64 v[17:18], v[60:61], v[2:3], v[17:18]
	v_fma_f64 v[2:3], v[66:67], v[2:3], -v[4:5]
	v_fma_f64 v[4:5], v[58:59], v[6:7], v[19:20]
	v_fma_f64 v[6:7], v[64:65], v[6:7], -v[8:9]
	v_mad_u64_u32 v[8:9], s[0:1], s13, v23, v[13:14]
	v_mov_b32_e32 v13, v21
	v_lshlrev_b64 v[9:10], 4, v[10:11]
	v_lshlrev_b64 v[23:24], 4, v[12:13]
	v_add_f64 v[11:12], v[56:57], v[17:18]
	v_add_f64 v[19:20], v[17:18], v[4:5]
	;; [unrolled: 1-line block ×4, first 2 shown]
	v_add_f64 v[25:26], v[2:3], -v[6:7]
	v_add_f64 v[16:17], v[17:18], -v[4:5]
	v_mov_b32_e32 v15, v8
	v_add_co_u32_e32 v29, vcc, v0, v9
	v_fma_f64 v[18:19], v[19:20], -0.5, v[56:57]
	v_fma_f64 v[20:21], v[21:22], -0.5, v[62:63]
	v_add_f64 v[2:3], v[11:12], v[4:5]
	v_add_f64 v[4:5], v[27:28], v[6:7]
	v_addc_co_u32_e32 v30, vcc, v1, v10, vcc
	v_lshlrev_b64 v[14:15], 4, v[14:15]
	v_fma_f64 v[6:7], v[25:26], s[2:3], v[18:19]
	v_fma_f64 v[8:9], v[16:17], s[4:5], v[20:21]
	;; [unrolled: 1-line block ×4, first 2 shown]
	v_add_co_u32_e32 v16, vcc, v0, v23
	v_addc_co_u32_e32 v17, vcc, v1, v24, vcc
	v_add_co_u32_e32 v0, vcc, v0, v14
	v_addc_co_u32_e32 v1, vcc, v1, v15, vcc
	global_store_dwordx4 v[29:30], v[2:5], off
	global_store_dwordx4 v[16:17], v[6:9], off
	;; [unrolled: 1-line block ×3, first 2 shown]
.LBB0_32:
	s_endpgm
	.section	.rodata,"a",@progbits
	.p2align	6, 0x0
	.amdhsa_kernel fft_rtc_back_len1440_factors_10_16_3_3_wgs_90_tpt_90_halfLds_dp_ip_CI_sbrr_dirReg
		.amdhsa_group_segment_fixed_size 0
		.amdhsa_private_segment_fixed_size 0
		.amdhsa_kernarg_size 88
		.amdhsa_user_sgpr_count 6
		.amdhsa_user_sgpr_private_segment_buffer 1
		.amdhsa_user_sgpr_dispatch_ptr 0
		.amdhsa_user_sgpr_queue_ptr 0
		.amdhsa_user_sgpr_kernarg_segment_ptr 1
		.amdhsa_user_sgpr_dispatch_id 0
		.amdhsa_user_sgpr_flat_scratch_init 0
		.amdhsa_user_sgpr_private_segment_size 0
		.amdhsa_uses_dynamic_stack 0
		.amdhsa_system_sgpr_private_segment_wavefront_offset 0
		.amdhsa_system_sgpr_workgroup_id_x 1
		.amdhsa_system_sgpr_workgroup_id_y 0
		.amdhsa_system_sgpr_workgroup_id_z 0
		.amdhsa_system_sgpr_workgroup_info 0
		.amdhsa_system_vgpr_workitem_id 0
		.amdhsa_next_free_vgpr 174
		.amdhsa_next_free_sgpr 26
		.amdhsa_reserve_vcc 1
		.amdhsa_reserve_flat_scratch 0
		.amdhsa_float_round_mode_32 0
		.amdhsa_float_round_mode_16_64 0
		.amdhsa_float_denorm_mode_32 3
		.amdhsa_float_denorm_mode_16_64 3
		.amdhsa_dx10_clamp 1
		.amdhsa_ieee_mode 1
		.amdhsa_fp16_overflow 0
		.amdhsa_exception_fp_ieee_invalid_op 0
		.amdhsa_exception_fp_denorm_src 0
		.amdhsa_exception_fp_ieee_div_zero 0
		.amdhsa_exception_fp_ieee_overflow 0
		.amdhsa_exception_fp_ieee_underflow 0
		.amdhsa_exception_fp_ieee_inexact 0
		.amdhsa_exception_int_div_zero 0
	.end_amdhsa_kernel
	.text
.Lfunc_end0:
	.size	fft_rtc_back_len1440_factors_10_16_3_3_wgs_90_tpt_90_halfLds_dp_ip_CI_sbrr_dirReg, .Lfunc_end0-fft_rtc_back_len1440_factors_10_16_3_3_wgs_90_tpt_90_halfLds_dp_ip_CI_sbrr_dirReg
                                        ; -- End function
	.section	.AMDGPU.csdata,"",@progbits
; Kernel info:
; codeLenInByte = 12552
; NumSgprs: 30
; NumVgprs: 174
; ScratchSize: 0
; MemoryBound: 1
; FloatMode: 240
; IeeeMode: 1
; LDSByteSize: 0 bytes/workgroup (compile time only)
; SGPRBlocks: 3
; VGPRBlocks: 43
; NumSGPRsForWavesPerEU: 30
; NumVGPRsForWavesPerEU: 174
; Occupancy: 1
; WaveLimiterHint : 1
; COMPUTE_PGM_RSRC2:SCRATCH_EN: 0
; COMPUTE_PGM_RSRC2:USER_SGPR: 6
; COMPUTE_PGM_RSRC2:TRAP_HANDLER: 0
; COMPUTE_PGM_RSRC2:TGID_X_EN: 1
; COMPUTE_PGM_RSRC2:TGID_Y_EN: 0
; COMPUTE_PGM_RSRC2:TGID_Z_EN: 0
; COMPUTE_PGM_RSRC2:TIDIG_COMP_CNT: 0
	.type	__hip_cuid_3ec7b03d2c6a83ab,@object ; @__hip_cuid_3ec7b03d2c6a83ab
	.section	.bss,"aw",@nobits
	.globl	__hip_cuid_3ec7b03d2c6a83ab
__hip_cuid_3ec7b03d2c6a83ab:
	.byte	0                               ; 0x0
	.size	__hip_cuid_3ec7b03d2c6a83ab, 1

	.ident	"AMD clang version 19.0.0git (https://github.com/RadeonOpenCompute/llvm-project roc-6.4.0 25133 c7fe45cf4b819c5991fe208aaa96edf142730f1d)"
	.section	".note.GNU-stack","",@progbits
	.addrsig
	.addrsig_sym __hip_cuid_3ec7b03d2c6a83ab
	.amdgpu_metadata
---
amdhsa.kernels:
  - .args:
      - .actual_access:  read_only
        .address_space:  global
        .offset:         0
        .size:           8
        .value_kind:     global_buffer
      - .offset:         8
        .size:           8
        .value_kind:     by_value
      - .actual_access:  read_only
        .address_space:  global
        .offset:         16
        .size:           8
        .value_kind:     global_buffer
      - .actual_access:  read_only
        .address_space:  global
        .offset:         24
        .size:           8
        .value_kind:     global_buffer
      - .offset:         32
        .size:           8
        .value_kind:     by_value
      - .actual_access:  read_only
        .address_space:  global
        .offset:         40
        .size:           8
        .value_kind:     global_buffer
      - .actual_access:  read_only
        .address_space:  global
        .offset:         48
        .size:           8
        .value_kind:     global_buffer
      - .offset:         56
        .size:           4
        .value_kind:     by_value
      - .actual_access:  read_only
        .address_space:  global
        .offset:         64
        .size:           8
        .value_kind:     global_buffer
      - .actual_access:  read_only
        .address_space:  global
        .offset:         72
        .size:           8
        .value_kind:     global_buffer
      - .address_space:  global
        .offset:         80
        .size:           8
        .value_kind:     global_buffer
    .group_segment_fixed_size: 0
    .kernarg_segment_align: 8
    .kernarg_segment_size: 88
    .language:       OpenCL C
    .language_version:
      - 2
      - 0
    .max_flat_workgroup_size: 90
    .name:           fft_rtc_back_len1440_factors_10_16_3_3_wgs_90_tpt_90_halfLds_dp_ip_CI_sbrr_dirReg
    .private_segment_fixed_size: 0
    .sgpr_count:     30
    .sgpr_spill_count: 0
    .symbol:         fft_rtc_back_len1440_factors_10_16_3_3_wgs_90_tpt_90_halfLds_dp_ip_CI_sbrr_dirReg.kd
    .uniform_work_group_size: 1
    .uses_dynamic_stack: false
    .vgpr_count:     174
    .vgpr_spill_count: 0
    .wavefront_size: 64
amdhsa.target:   amdgcn-amd-amdhsa--gfx906
amdhsa.version:
  - 1
  - 2
...

	.end_amdgpu_metadata
